;; amdgpu-corpus repo=ROCm/rocFFT kind=compiled arch=gfx950 opt=O3
	.text
	.amdgcn_target "amdgcn-amd-amdhsa--gfx950"
	.amdhsa_code_object_version 6
	.protected	bluestein_single_back_len189_dim1_sp_op_CI_CI ; -- Begin function bluestein_single_back_len189_dim1_sp_op_CI_CI
	.globl	bluestein_single_back_len189_dim1_sp_op_CI_CI
	.p2align	8
	.type	bluestein_single_back_len189_dim1_sp_op_CI_CI,@function
bluestein_single_back_len189_dim1_sp_op_CI_CI: ; @bluestein_single_back_len189_dim1_sp_op_CI_CI
; %bb.0:
	s_load_dwordx4 s[12:15], s[0:1], 0x28
	v_mul_u32_u24_e32 v1, 0xc31, v0
	v_lshrrev_b32_e32 v2, 16, v1
	v_mad_u64_u32 v[64:65], s[2:3], s2, 3, v[2:3]
	v_mov_b32_e32 v59, 0
	v_mov_b32_e32 v65, v59
	s_waitcnt lgkmcnt(0)
	v_cmp_gt_u64_e32 vcc, s[12:13], v[64:65]
	s_and_saveexec_b64 s[2:3], vcc
	s_cbranch_execz .LBB0_15
; %bb.1:
	s_load_dwordx4 s[4:7], s[0:1], 0x18
	s_load_dwordx2 s[12:13], s[0:1], 0x0
	v_mul_lo_u16_e32 v1, 21, v2
	v_sub_u16_e32 v58, v0, v1
	v_mov_b32_e32 v4, s14
	s_waitcnt lgkmcnt(0)
	s_load_dwordx4 s[8:11], s[4:5], 0x0
	v_mov_b32_e32 v5, s15
	s_mov_b32 s4, 0xaaaaaaab
	v_mul_hi_u32 v20, v64, s4
	v_lshrrev_b32_e32 v20, 1, v20
	s_waitcnt lgkmcnt(0)
	v_mad_u64_u32 v[0:1], s[2:3], s10, v64, 0
	v_mov_b32_e32 v2, v1
	v_mad_u64_u32 v[2:3], s[2:3], s11, v64, v[2:3]
	v_mov_b32_e32 v1, v2
	;; [unrolled: 2-line block ×3, first 2 shown]
	v_mad_u64_u32 v[6:7], s[2:3], s9, v58, v[6:7]
	s_mul_i32 s2, s9, 27
	s_mul_hi_u32 s3, s8, 27
	v_mov_b32_e32 v3, v6
	v_lshl_add_u64 v[0:1], v[0:1], 3, v[4:5]
	s_add_i32 s3, s3, s2
	s_mul_i32 s2, s8, 27
	v_lshl_add_u64 v[2:3], v[2:3], 3, v[0:1]
	v_lshlrev_b32_e32 v4, 3, v58
	s_lshl_b64 s[10:11], s[2:3], 3
	global_load_dwordx2 v[74:75], v4, s[12:13]
	global_load_dwordx2 v[6:7], v[2:3], off
	v_lshl_add_u64 v[2:3], v[2:3], 0, s[10:11]
	global_load_dwordx2 v[8:9], v[2:3], off
	global_load_dwordx2 v[72:73], v4, s[12:13] offset:216
	v_lshl_add_u64 v[2:3], v[2:3], 0, s[10:11]
	global_load_dwordx2 v[70:71], v4, s[12:13] offset:432
	global_load_dwordx2 v[10:11], v[2:3], off
	v_lshl_add_u64 v[2:3], v[2:3], 0, s[10:11]
	global_load_dwordx2 v[12:13], v[2:3], off
	global_load_dwordx2 v[68:69], v4, s[12:13] offset:648
	v_lshl_add_u64 v[2:3], v[2:3], 0, s[10:11]
	global_load_dwordx2 v[14:15], v[2:3], off
	global_load_dwordx2 v[66:67], v4, s[12:13] offset:864
	;; [unrolled: 3-line block ×3, first 2 shown]
	v_lshl_add_u64 v[2:3], v[2:3], 0, s[10:11]
	global_load_dwordx2 v[60:61], v4, s[12:13] offset:1296
	global_load_dwordx2 v[18:19], v[2:3], off
	v_lshl_add_u32 v20, v20, 1, v20
	v_sub_u32_e32 v20, v64, v20
	v_mul_u32_u24_e32 v20, 0xbd, v20
	v_mov_b32_e32 v5, v59
	v_lshlrev_b32_e32 v113, 3, v20
	v_lshl_add_u64 v[56:57], s[12:13], 0, v[4:5]
	v_add_u32_e32 v65, v4, v113
	s_load_dwordx2 s[2:3], s[0:1], 0x38
	v_cmp_gt_u16_e32 vcc, 6, v58
	s_load_dwordx4 s[4:7], s[6:7], 0x0
	v_or_b32_e32 v112, 48, v58
	s_waitcnt vmcnt(12)
	v_mul_f32_e32 v4, v7, v75
	v_mul_f32_e32 v5, v6, v75
	v_fmac_f32_e32 v4, v6, v74
	v_fma_f32 v5, v7, v74, -v5
	s_waitcnt vmcnt(10)
	v_mul_f32_e32 v6, v9, v73
	v_mul_f32_e32 v7, v8, v73
	v_fmac_f32_e32 v6, v8, v72
	v_fma_f32 v7, v9, v72, -v7
	s_waitcnt vmcnt(8)
	v_mul_f32_e32 v8, v11, v71
	v_mul_f32_e32 v9, v10, v71
	ds_write2_b64 v65, v[4:5], v[6:7] offset1:27
	s_waitcnt vmcnt(6)
	v_mul_f32_e32 v4, v13, v69
	v_mul_f32_e32 v5, v12, v69
	v_fmac_f32_e32 v8, v10, v70
	v_fma_f32 v9, v11, v70, -v9
	v_fmac_f32_e32 v4, v12, v68
	v_fma_f32 v5, v13, v68, -v5
	s_waitcnt vmcnt(4)
	v_mul_f32_e32 v6, v15, v67
	v_mul_f32_e32 v7, v14, v67
	ds_write2_b64 v65, v[8:9], v[4:5] offset0:54 offset1:81
	s_waitcnt vmcnt(2)
	v_mul_f32_e32 v4, v17, v63
	v_mul_f32_e32 v5, v16, v63
	s_waitcnt vmcnt(0)
	v_mul_f32_e32 v8, v19, v61
	v_mul_f32_e32 v9, v18, v61
	v_fmac_f32_e32 v6, v14, v66
	v_fma_f32 v7, v15, v66, -v7
	v_fmac_f32_e32 v4, v16, v62
	v_fma_f32 v5, v17, v62, -v5
	;; [unrolled: 2-line block ×3, first 2 shown]
	ds_write2_b64 v65, v[6:7], v[4:5] offset0:108 offset1:135
	ds_write_b64 v65, v[8:9] offset:1296
	s_and_saveexec_b64 s[14:15], vcc
	s_cbranch_execz .LBB0_3
; %bb.2:
	v_mov_b32_e32 v4, 0xfffffb98
	v_mad_u64_u32 v[2:3], s[16:17], s8, v4, v[2:3]
	s_mul_i32 s16, s9, 0xfffffb98
	s_sub_i32 s16, s16, s8
	v_add_u32_e32 v3, s16, v3
	v_mad_u64_u32 v[6:7], s[16:17], s8, v112, 0
	v_mov_b32_e32 v8, v7
	v_mad_u64_u32 v[8:9], s[16:17], s9, v112, v[8:9]
	v_mov_b32_e32 v7, v8
	v_mov_b32_e32 v8, 0x1b0
	global_load_dwordx2 v[4:5], v[2:3], off
	v_mad_u64_u32 v[2:3], s[16:17], s8, v8, v[2:3]
	s_mul_i32 s8, s9, 0x1b0
	v_lshl_add_u64 v[0:1], v[6:7], 3, v[0:1]
	global_load_dwordx2 v[6:7], v[56:57], off offset:168
	v_add_u32_e32 v3, s8, v3
	global_load_dwordx2 v[0:1], v[0:1], off
	s_nop 0
	global_load_dwordx2 v[8:9], v[56:57], off offset:384
	global_load_dwordx2 v[10:11], v[2:3], off
	global_load_dwordx2 v[12:13], v[56:57], off offset:600
	v_lshl_add_u64 v[2:3], v[2:3], 0, s[10:11]
	global_load_dwordx2 v[14:15], v[2:3], off
	global_load_dwordx2 v[16:17], v[56:57], off offset:816
	v_lshl_add_u64 v[2:3], v[2:3], 0, s[10:11]
	;; [unrolled: 3-line block ×4, first 2 shown]
	global_load_dwordx2 v[26:27], v[56:57], off offset:1464
	global_load_dwordx2 v[28:29], v[2:3], off
	s_waitcnt vmcnt(12)
	v_mul_f32_e32 v2, v5, v7
	v_mul_f32_e32 v3, v4, v7
	v_fmac_f32_e32 v2, v4, v6
	v_fma_f32 v3, v5, v6, -v3
	s_waitcnt vmcnt(10)
	v_mul_f32_e32 v4, v1, v9
	v_mul_f32_e32 v5, v0, v9
	s_waitcnt vmcnt(8)
	v_mul_f32_e32 v6, v11, v13
	v_mul_f32_e32 v7, v10, v13
	v_fmac_f32_e32 v4, v0, v8
	v_fma_f32 v5, v1, v8, -v5
	s_waitcnt vmcnt(6)
	v_mul_f32_e32 v0, v15, v17
	v_mul_f32_e32 v1, v14, v17
	v_fmac_f32_e32 v6, v10, v12
	v_fma_f32 v7, v11, v12, -v7
	v_fmac_f32_e32 v0, v14, v16
	v_fma_f32 v1, v15, v16, -v1
	ds_write2_b64 v65, v[2:3], v[4:5] offset0:21 offset1:48
	s_waitcnt vmcnt(4)
	v_mul_f32_e32 v2, v19, v21
	v_mul_f32_e32 v3, v18, v21
	ds_write2_b64 v65, v[6:7], v[0:1] offset0:75 offset1:102
	s_waitcnt vmcnt(2)
	v_mul_f32_e32 v0, v23, v25
	v_mul_f32_e32 v1, v22, v25
	s_waitcnt vmcnt(0)
	v_mul_f32_e32 v4, v29, v27
	v_mul_f32_e32 v5, v28, v27
	v_fmac_f32_e32 v2, v18, v20
	v_fma_f32 v3, v19, v20, -v3
	v_fmac_f32_e32 v0, v22, v24
	v_fma_f32 v1, v23, v24, -v1
	;; [unrolled: 2-line block ×3, first 2 shown]
	ds_write2_b64 v65, v[2:3], v[0:1] offset0:129 offset1:156
	ds_write_b64 v65, v[4:5] offset:1464
.LBB0_3:
	s_or_b64 exec, exec, s[14:15]
	s_waitcnt lgkmcnt(0)
	; wave barrier
	s_waitcnt lgkmcnt(0)
	ds_read2_b64 v[12:15], v65 offset1:27
	ds_read2_b64 v[8:11], v65 offset0:54 offset1:81
	ds_read2_b64 v[16:19], v65 offset0:108 offset1:135
	ds_read_b64 v[24:25], v65 offset:1296
	s_load_dwordx2 s[0:1], s[0:1], 0x8
	v_mov_b64_e32 v[0:1], 0
	v_mov_b32_e32 v2, 0
	v_mov_b32_e32 v3, 0
	;; [unrolled: 1-line block ×6, first 2 shown]
                                        ; implicit-def: $vgpr26
	s_and_saveexec_b64 s[8:9], vcc
	s_cbranch_execz .LBB0_5
; %bb.4:
	ds_read2_b64 v[0:3], v65 offset0:21 offset1:48
	ds_read2_b64 v[4:7], v65 offset0:75 offset1:102
	;; [unrolled: 1-line block ×3, first 2 shown]
	ds_read_b64 v[26:27], v65 offset:1464
.LBB0_5:
	s_or_b64 exec, exec, s[8:9]
	s_waitcnt lgkmcnt(0)
	v_pk_add_f32 v[36:37], v[26:27], v[2:3]
	v_pk_add_f32 v[2:3], v[2:3], v[26:27] neg_lo:[0,1] neg_hi:[0,1]
	v_pk_add_f32 v[26:27], v[22:23], v[4:5]
	v_pk_add_f32 v[4:5], v[4:5], v[22:23] neg_lo:[0,1] neg_hi:[0,1]
	;; [unrolled: 2-line block ×4, first 2 shown]
	v_pk_add_f32 v[36:37], v[36:37], v[22:23] neg_lo:[0,1] neg_hi:[0,1]
	v_pk_add_f32 v[26:27], v[22:23], v[26:27] neg_lo:[0,1] neg_hi:[0,1]
	v_pk_add_f32 v[40:41], v[4:5], v[6:7] op_sel:[1,1] op_sel_hi:[0,0]
	v_pk_add_f32 v[42:43], v[6:7], v[4:5] op_sel:[1,1] op_sel_hi:[0,0] neg_lo:[0,1] neg_hi:[0,1]
	v_pk_add_f32 v[22:23], v[20:21], v[22:23]
	s_mov_b32 s18, 0x3f4a47b2
	s_mov_b32 s20, 0x3d64c772
	;; [unrolled: 1-line block ×3, first 2 shown]
	v_pk_add_f32 v[6:7], v[2:3], v[6:7] op_sel:[1,1] op_sel_hi:[0,0] neg_lo:[0,1] neg_hi:[0,1]
	v_pk_add_f32 v[4:5], v[4:5], v[2:3] op_sel:[1,1] op_sel_hi:[0,0] neg_lo:[0,1] neg_hi:[0,1]
	v_pk_add_f32 v[2:3], v[2:3], v[40:41] op_sel:[1,0] op_sel_hi:[0,1]
	v_pk_add_f32 v[20:21], v[22:23], v[0:1]
	s_mov_b32 s16, 0x3f955555
	v_pk_mul_f32 v[0:1], v[36:37], s[18:19] op_sel_hi:[1,0]
	v_pk_mul_f32 v[36:37], v[26:27], s[20:21] op_sel_hi:[1,0]
	s_mov_b32 s10, 0x3f3bfb3b
	v_pk_mul_f32 v[40:41], v[42:43], s[24:25] op_sel_hi:[1,0]
	s_mov_b32 s14, 0x3f5ff5aa
	s_mov_b32 s8, 0x3ee1c552
	;; [unrolled: 1-line block ×3, first 2 shown]
	v_pk_mul_f32 v[42:43], v[4:5], s[14:15] op_sel_hi:[1,0]
	v_pk_fma_f32 v[22:23], v[22:23], s[16:17], v[20:21] op_sel_hi:[1,0,1] neg_lo:[1,0,0] neg_hi:[1,0,0]
	v_pk_fma_f32 v[36:37], v[38:39], s[10:11], v[36:37] op_sel_hi:[1,0,1] neg_lo:[0,0,1] neg_hi:[0,0,1]
	;; [unrolled: 1-line block ×3, first 2 shown]
	v_pk_add_f32 v[28:29], v[14:15], v[24:25]
	v_pk_add_f32 v[30:31], v[8:9], v[18:19]
	;; [unrolled: 1-line block ×3, first 2 shown]
	v_pk_fma_f32 v[26:27], v[26:27], s[20:21], v[0:1] op_sel_hi:[1,0,1]
	v_pk_fma_f32 v[0:1], v[38:39], s[10:11], v[0:1] op_sel_hi:[1,0,1] neg_lo:[1,0,1] neg_hi:[1,0,1]
	v_pk_fma_f32 v[38:39], v[6:7], s[22:23], v[40:41] op_sel_hi:[1,0,1]
	v_pk_fma_f32 v[6:7], v[6:7], s[22:23], v[42:43] op_sel_hi:[1,0,1] neg_lo:[1,0,1] neg_hi:[1,0,1]
	v_pk_add_f32 v[36:37], v[36:37], v[22:23]
	v_pk_fma_f32 v[4:5], v[2:3], s[8:9], v[4:5] op_sel_hi:[1,0,1]
	v_pk_add_f32 v[0:1], v[0:1], v[22:23]
	v_pk_fma_f32 v[38:39], v[2:3], s[8:9], v[38:39] op_sel_hi:[1,0,1]
	v_pk_fma_f32 v[2:3], v[2:3], s[8:9], v[6:7] op_sel_hi:[1,0,1]
	v_pk_add_f32 v[40:41], v[36:37], v[4:5] neg_lo:[0,1] neg_hi:[0,1]
	v_pk_add_f32 v[4:5], v[36:37], v[4:5]
	v_pk_add_f32 v[36:37], v[30:31], v[28:29]
	v_pk_add_f32 v[8:9], v[8:9], v[18:19] neg_lo:[0,1] neg_hi:[0,1]
	v_pk_add_f32 v[10:11], v[16:17], v[10:11] neg_lo:[0,1] neg_hi:[0,1]
	v_mov_b32_e32 v16, v34
	v_mov_b32_e32 v17, v29
	;; [unrolled: 1-line block ×4, first 2 shown]
	v_pk_add_f32 v[26:27], v[26:27], v[22:23]
	v_pk_add_f32 v[22:23], v[0:1], v[2:3]
	v_pk_add_f32 v[6:7], v[0:1], v[2:3] neg_lo:[0,1] neg_hi:[0,1]
	v_pk_add_f32 v[36:37], v[34:35], v[36:37]
	v_pk_add_f32 v[14:15], v[14:15], v[24:25] neg_lo:[0,1] neg_hi:[0,1]
	v_pk_add_f32 v[16:17], v[16:17], v[18:19] neg_lo:[0,1] neg_hi:[0,1]
	v_mov_b32_e32 v18, v28
	v_mov_b32_e32 v35, v31
	;; [unrolled: 1-line block ×5, first 2 shown]
	v_pk_add_f32 v[22:23], v[26:27], v[38:39] neg_lo:[0,1] neg_hi:[0,1]
	v_pk_add_f32 v[26:27], v[26:27], v[38:39]
	v_pk_add_f32 v[18:19], v[18:19], v[34:35] neg_lo:[0,1] neg_hi:[0,1]
	v_mov_b32_e32 v34, v11
	v_mov_b32_e32 v35, v14
	v_mov_b32_e32 v38, v9
	v_mov_b32_e32 v39, v10
	v_pk_add_f32 v[24:25], v[10:11], v[8:9]
	v_pk_add_f32 v[34:35], v[34:35], v[38:39] neg_lo:[0,1] neg_hi:[0,1]
	v_mov_b32_e32 v38, v15
	v_mov_b32_e32 v10, v11
	v_mov_b32_e32 v11, v8
	s_mov_b32 s21, s18
	s_mov_b32 s25, s22
	v_pk_add_f32 v[12:13], v[12:13], v[36:37]
	v_pk_add_f32 v[10:11], v[38:39], v[10:11] neg_lo:[0,1] neg_hi:[0,1]
	v_pk_add_f32 v[24:25], v[24:25], v[14:15]
	v_pk_mul_f32 v[16:17], v[16:17], s[20:21]
	s_mov_b32 s19, s20
	s_mov_b32 s23, s24
	v_pk_mul_f32 v[34:35], v[34:35], s[24:25]
	v_mov_b32_e32 v2, v40
	v_mov_b32_e32 v3, v5
	;; [unrolled: 1-line block ×3, first 2 shown]
	v_pk_mul_f32 v[38:39], v[18:19], s[18:19]
	v_pk_mul_f32 v[40:41], v[24:25], s[8:9] op_sel_hi:[1,0]
	v_pk_mul_f32 v[42:43], v[10:11], s[22:23]
	v_pk_fma_f32 v[18:19], v[18:19], s[18:19], v[16:17]
	v_pk_fma_f32 v[10:11], v[10:11], s[22:23], v[34:35]
	v_pk_fma_f32 v[36:37], v[36:37], s[16:17], v[12:13] op_sel_hi:[1,0,1] neg_lo:[1,0,0] neg_hi:[1,0,0]
	v_pk_add_f32 v[10:11], v[40:41], v[10:11] op_sel:[1,0] op_sel_hi:[0,1]
	v_pk_add_f32 v[18:19], v[18:19], v[36:37]
	v_mov_b32_e32 v76, v22
	v_mul_lo_u16_e32 v22, 7, v58
	v_pk_add_f32 v[40:41], v[18:19], v[10:11]
	v_pk_add_f32 v[10:11], v[18:19], v[10:11] neg_lo:[0,1] neg_hi:[0,1]
	v_lshl_add_u32 v114, v22, 3, v113
	v_mov_b32_e32 v18, v40
	v_mov_b32_e32 v19, v11
	s_waitcnt lgkmcnt(0)
	; wave barrier
	ds_write2_b64 v114, v[12:13], v[18:19] offset1:1
	v_pk_add_f32 v[12:13], v[30:31], v[28:29] neg_lo:[0,1] neg_hi:[0,1]
	v_pk_add_f32 v[8:9], v[8:9], v[14:15] neg_lo:[0,1] neg_hi:[0,1]
	v_mov_b32_e32 v14, v38
	v_mov_b32_e32 v15, v17
	;; [unrolled: 1-line block ×3, first 2 shown]
	v_pk_fma_f32 v[14:15], v[12:13], s[10:11], v[14:15] op_sel_hi:[1,0,1] neg_lo:[1,0,1] neg_hi:[1,0,1]
	v_mov_b32_e32 v18, v35
	v_mov_b32_e32 v19, v42
	v_pk_fma_f32 v[12:13], v[12:13], s[10:11], v[16:17] op_sel_hi:[1,0,1] neg_lo:[0,0,1] neg_hi:[0,0,1]
	v_mov_b32_e32 v16, v43
	v_mov_b32_e32 v17, v34
	v_pk_fma_f32 v[18:19], v[8:9], s[14:15], v[18:19] op_sel_hi:[1,0,1] neg_lo:[1,0,1] neg_hi:[1,0,1]
	v_pk_fma_f32 v[8:9], v[8:9], s[14:15], v[16:17] op_sel_hi:[1,0,1] neg_lo:[0,0,1] neg_hi:[0,0,1]
	v_pk_fma_f32 v[18:19], v[24:25], s[8:9], v[18:19] op_sel_hi:[1,0,1]
	v_pk_add_f32 v[14:15], v[14:15], v[36:37]
	v_pk_fma_f32 v[8:9], v[24:25], s[8:9], v[8:9] op_sel_hi:[1,0,1]
	v_pk_add_f32 v[12:13], v[12:13], v[36:37]
	v_lshl_add_u64 v[32:33], v[58:59], 0, 21
	v_pk_add_f32 v[28:29], v[14:15], v[18:19] op_sel:[0,1] op_sel_hi:[1,0]
	v_pk_add_f32 v[14:15], v[14:15], v[18:19] op_sel:[0,1] op_sel_hi:[1,0] neg_lo:[0,1] neg_hi:[0,1]
	v_pk_add_f32 v[16:17], v[12:13], v[8:9] op_sel:[0,1] op_sel_hi:[1,0] neg_lo:[0,1] neg_hi:[0,1]
	v_pk_add_f32 v[8:9], v[12:13], v[8:9] op_sel:[0,1] op_sel_hi:[1,0]
	v_mov_b32_e32 v77, v27
	v_mov_b32_e32 v12, v28
	;; [unrolled: 1-line block ×8, first 2 shown]
	v_mul_u32_u24_e32 v116, 7, v32
	ds_write2_b64 v114, v[12:13], v[18:19] offset0:2 offset1:3
	ds_write2_b64 v114, v[8:9], v[14:15] offset0:4 offset1:5
	ds_write_b64 v114, v[10:11] offset:48
	s_and_saveexec_b64 s[8:9], vcc
	s_cbranch_execz .LBB0_7
; %bb.6:
	v_lshl_add_u32 v8, v116, 3, v113
	v_mov_b32_e32 v27, v23
	ds_write2_b64 v8, v[20:21], v[26:27] offset1:1
	ds_write2_b64 v8, v[0:1], v[2:3] offset0:2 offset1:3
	ds_write2_b64 v8, v[4:5], v[6:7] offset0:4 offset1:5
	ds_write_b64 v8, v[76:77] offset:48
.LBB0_7:
	s_or_b64 exec, exec, s[8:9]
	v_lshl_add_u64 v[28:29], v[58:59], 0, 42
	v_mov_b32_e32 v8, 37
	v_mul_lo_u16_sdwa v9, v58, v8 dst_sel:DWORD dst_unused:UNUSED_PAD src0_sel:BYTE_0 src1_sel:DWORD
	v_mul_lo_u16_sdwa v10, v32, v8 dst_sel:DWORD dst_unused:UNUSED_PAD src0_sel:BYTE_0 src1_sel:DWORD
	;; [unrolled: 1-line block ×3, first 2 shown]
	v_sub_u16_sdwa v13, v28, v8 dst_sel:DWORD dst_unused:UNUSED_PAD src0_sel:DWORD src1_sel:BYTE_1
	v_lshrrev_b16_e32 v13, 1, v13
	v_and_b32_e32 v13, 0x7f, v13
	v_add_u16_sdwa v8, v13, v8 dst_sel:DWORD dst_unused:UNUSED_PAD src0_sel:DWORD src1_sel:BYTE_1
	v_lshrrev_b16_e32 v29, 2, v8
	v_mul_lo_u16_e32 v8, 7, v29
	v_mov_b32_e32 v12, 4
	v_sub_u16_e32 v33, v28, v8
	v_sub_u16_sdwa v11, v32, v10 dst_sel:DWORD dst_unused:UNUSED_PAD src0_sel:DWORD src1_sel:BYTE_1
	v_lshlrev_b32_sdwa v8, v12, v33 dst_sel:DWORD dst_unused:UNUSED_PAD src0_sel:DWORD src1_sel:BYTE_0
	s_waitcnt lgkmcnt(0)
	; wave barrier
	s_waitcnt lgkmcnt(0)
	global_load_dwordx4 v[16:19], v8, s[0:1]
	v_lshrrev_b16_e32 v8, 1, v11
	v_and_b32_e32 v8, 0x7f, v8
	v_add_u16_sdwa v8, v8, v10 dst_sel:DWORD dst_unused:UNUSED_PAD src0_sel:DWORD src1_sel:BYTE_1
	v_lshrrev_b16_e32 v42, 2, v8
	v_mul_lo_u16_e32 v8, 7, v42
	v_sub_u16_e32 v43, v32, v8
	v_lshlrev_b32_sdwa v8, v12, v43 dst_sel:DWORD dst_unused:UNUSED_PAD src0_sel:DWORD src1_sel:BYTE_0
	global_load_dwordx4 v[12:15], v8, s[0:1]
	v_sub_u16_sdwa v8, v58, v9 dst_sel:DWORD dst_unused:UNUSED_PAD src0_sel:DWORD src1_sel:BYTE_1
	v_lshrrev_b16_e32 v8, 1, v8
	v_and_b32_e32 v8, 0x7f, v8
	v_add_u16_sdwa v8, v8, v9 dst_sel:DWORD dst_unused:UNUSED_PAD src0_sel:DWORD src1_sel:BYTE_1
	v_lshrrev_b16_e32 v44, 2, v8
	v_mul_lo_u16_e32 v8, 7, v44
	v_sub_u16_e32 v45, v58, v8
	v_lshlrev_b16_e32 v8, 1, v45
	v_and_b32_e32 v8, 0xfe, v8
	v_lshlrev_b32_e32 v8, 3, v8
	global_load_dwordx4 v[8:11], v8, s[0:1]
	ds_read2_b64 v[20:23], v65 offset0:42 offset1:63
	ds_read2_b64 v[24:27], v65 offset0:84 offset1:105
	ds_read_b64 v[30:31], v65 offset:1344
	ds_read2_b64 v[34:37], v65 offset1:21
	ds_read2_b64 v[38:41], v65 offset0:126 offset1:147
	v_mul_u32_u24_e32 v42, 21, v42
	v_mul_u32_u24_e32 v29, 21, v29
	v_mad_legacy_u16 v44, v44, 21, v45
	v_add_u32_sdwa v42, v42, v43 dst_sel:DWORD dst_unused:UNUSED_PAD src0_sel:DWORD src1_sel:BYTE_0
	v_add_u32_sdwa v29, v29, v33 dst_sel:DWORD dst_unused:UNUSED_PAD src0_sel:DWORD src1_sel:BYTE_0
	v_and_b32_e32 v33, 0xff, v44
	v_lshl_add_u32 v117, v42, 3, v113
	s_mov_b32 s8, 0x3f5db3d7
	v_lshl_add_u32 v118, v33, 3, v113
	s_waitcnt lgkmcnt(0)
	; wave barrier
	s_waitcnt lgkmcnt(0)
	v_lshl_add_u32 v115, v29, 3, v113
	v_lshlrev_b32_e32 v59, 4, v58
	s_waitcnt vmcnt(2)
	v_pk_mul_f32 v[42:43], v[26:27], v[16:17] op_sel:[0,1]
	v_mov_b32_e32 v44, v19
	v_pk_fma_f32 v[50:51], v[26:27], v[16:17], v[42:43] op_sel:[0,0,1] op_sel_hi:[1,1,0] neg_lo:[0,0,1] neg_hi:[0,0,1]
	v_pk_fma_f32 v[26:27], v[26:27], v[16:17], v[42:43] op_sel:[0,0,1] op_sel_hi:[1,0,0]
	v_pk_mul_f32 v[42:43], v[30:31], v[44:45] op_sel_hi:[1,0]
	v_mov_b32_e32 v51, v27
	v_pk_fma_f32 v[26:27], v[30:31], v[18:19], v[42:43] op_sel:[0,0,1] op_sel_hi:[1,1,0] neg_lo:[0,0,1] neg_hi:[0,0,1]
	v_pk_fma_f32 v[30:31], v[30:31], v[18:19], v[42:43] op_sel:[0,0,1] op_sel_hi:[1,0,0]
	s_waitcnt vmcnt(1)
	v_pk_mul_f32 v[46:47], v[24:25], v[12:13] op_sel:[0,1]
	v_mov_b32_e32 v48, v15
	v_pk_fma_f32 v[44:45], v[24:25], v[12:13], v[46:47] op_sel:[0,0,1] op_sel_hi:[1,1,0] neg_lo:[0,0,1] neg_hi:[0,0,1]
	v_pk_fma_f32 v[24:25], v[24:25], v[12:13], v[46:47] op_sel:[0,0,1] op_sel_hi:[1,0,0]
	v_pk_mul_f32 v[46:47], v[40:41], v[48:49] op_sel_hi:[1,0]
	v_mov_b32_e32 v45, v25
	v_pk_fma_f32 v[48:49], v[40:41], v[14:15], v[46:47] op_sel:[0,0,1] op_sel_hi:[1,1,0] neg_lo:[0,0,1] neg_hi:[0,0,1]
	v_pk_fma_f32 v[40:41], v[40:41], v[14:15], v[46:47] op_sel:[0,0,1] op_sel_hi:[1,0,0]
	v_mov_b32_e32 v27, v31
	v_mov_b32_e32 v49, v41
	v_pk_add_f32 v[40:41], v[36:37], v[44:45]
	s_waitcnt vmcnt(0)
	v_pk_mul_f32 v[42:43], v[22:23], v[8:9] op_sel:[0,1]
	v_mov_b32_e32 v24, v11
	v_pk_fma_f32 v[46:47], v[22:23], v[8:9], v[42:43] op_sel:[0,0,1] op_sel_hi:[1,1,0] neg_lo:[0,0,1] neg_hi:[0,0,1]
	v_pk_fma_f32 v[22:23], v[22:23], v[8:9], v[42:43] op_sel:[0,0,1] op_sel_hi:[1,0,0]
	v_pk_mul_f32 v[24:25], v[38:39], v[24:25] op_sel_hi:[1,0]
	v_mov_b32_e32 v47, v23
	v_pk_fma_f32 v[22:23], v[38:39], v[10:11], v[24:25] op_sel:[0,0,1] op_sel_hi:[1,1,0] neg_lo:[0,0,1] neg_hi:[0,0,1]
	v_pk_fma_f32 v[24:25], v[38:39], v[10:11], v[24:25] op_sel:[0,0,1] op_sel_hi:[1,0,0]
	v_pk_add_f32 v[38:39], v[40:41], v[48:49]
	v_pk_add_f32 v[40:41], v[44:45], v[48:49]
	v_mov_b32_e32 v23, v25
	v_pk_add_f32 v[24:25], v[34:35], v[46:47]
	v_pk_fma_f32 v[36:37], v[40:41], 0.5, v[36:37] op_sel_hi:[1,0,1] neg_lo:[1,0,0] neg_hi:[1,0,0]
	v_pk_add_f32 v[24:25], v[24:25], v[22:23]
	v_pk_add_f32 v[40:41], v[46:47], v[22:23]
	v_pk_add_f32 v[22:23], v[46:47], v[22:23] neg_lo:[0,1] neg_hi:[0,1]
	v_pk_fma_f32 v[34:35], v[40:41], 0.5, v[34:35] op_sel_hi:[1,0,1] neg_lo:[1,0,0] neg_hi:[1,0,0]
	v_pk_mul_f32 v[22:23], v[22:23], s[8:9] op_sel_hi:[1,0]
	v_pk_add_f32 v[42:43], v[44:45], v[48:49] neg_lo:[0,1] neg_hi:[0,1]
	v_pk_add_f32 v[40:41], v[34:35], v[22:23] op_sel:[0,1] op_sel_hi:[1,0]
	v_pk_add_f32 v[22:23], v[34:35], v[22:23] op_sel:[0,1] op_sel_hi:[1,0] neg_lo:[0,1] neg_hi:[0,1]
	v_mov_b32_e32 v34, v40
	v_mov_b32_e32 v35, v23
	;; [unrolled: 1-line block ×3, first 2 shown]
	ds_write2_b64 v118, v[24:25], v[34:35] offset1:7
	ds_write_b64 v118, v[22:23] offset:112
	v_pk_mul_f32 v[22:23], v[42:43], s[8:9] op_sel_hi:[1,0]
	v_pk_add_f32 v[30:31], v[20:21], v[50:51]
	v_pk_add_f32 v[24:25], v[36:37], v[22:23] op_sel:[0,1] op_sel_hi:[1,0]
	v_pk_add_f32 v[22:23], v[36:37], v[22:23] op_sel:[0,1] op_sel_hi:[1,0] neg_lo:[0,1] neg_hi:[0,1]
	v_mov_b32_e32 v34, v24
	v_mov_b32_e32 v35, v23
	;; [unrolled: 1-line block ×3, first 2 shown]
	ds_write_b64 v117, v[22:23] offset:112
	v_pk_add_f32 v[22:23], v[50:51], v[26:27]
	ds_write2_b64 v117, v[38:39], v[34:35] offset1:7
	v_pk_fma_f32 v[20:21], v[22:23], 0.5, v[20:21] op_sel_hi:[1,0,1] neg_lo:[1,0,0] neg_hi:[1,0,0]
	v_pk_add_f32 v[22:23], v[50:51], v[26:27] neg_lo:[0,1] neg_hi:[0,1]
	v_pk_add_f32 v[30:31], v[30:31], v[26:27]
	v_pk_mul_f32 v[22:23], v[22:23], s[8:9] op_sel_hi:[1,0]
	s_movk_i32 s9, 0x87
	v_pk_add_f32 v[24:25], v[20:21], v[22:23] op_sel:[0,1] op_sel_hi:[1,0]
	v_pk_add_f32 v[20:21], v[20:21], v[22:23] op_sel:[0,1] op_sel_hi:[1,0] neg_lo:[0,1] neg_hi:[0,1]
	v_mov_b32_e32 v22, v24
	v_mov_b32_e32 v23, v21
	;; [unrolled: 1-line block ×3, first 2 shown]
	ds_write_b64 v115, v[20:21] offset:112
	v_mul_lo_u16_sdwa v20, v28, s9 dst_sel:DWORD dst_unused:UNUSED_PAD src0_sel:BYTE_0 src1_sel:DWORD
	v_sub_u16_sdwa v21, v28, v20 dst_sel:DWORD dst_unused:UNUSED_PAD src0_sel:DWORD src1_sel:BYTE_1
	v_lshrrev_b16_e32 v21, 1, v21
	v_and_b32_e32 v21, 0x7f, v21
	v_add_u16_sdwa v20, v21, v20 dst_sel:DWORD dst_unused:UNUSED_PAD src0_sel:DWORD src1_sel:BYTE_1
	v_lshrrev_b16_e32 v20, 4, v20
	v_and_b32_e32 v20, 15, v20
	v_mul_lo_u16_e32 v20, 21, v20
	v_sub_u16_e32 v20, v28, v20
	v_and_b32_e32 v29, 0xff, v20
	v_lshlrev_b32_e32 v24, 4, v29
	ds_write2_b64 v115, v[30:31], v[22:23] offset1:7
	s_waitcnt lgkmcnt(0)
	; wave barrier
	s_waitcnt lgkmcnt(0)
	global_load_dwordx4 v[20:23], v59, s[0:1] offset:112
	v_lshl_add_u32 v119, v29, 3, v113
	global_load_dwordx4 v[24:27], v24, s[0:1] offset:112
	ds_read2_b64 v[34:37], v65 offset0:42 offset1:63
	ds_read2_b64 v[38:41], v65 offset1:21
	ds_read2_b64 v[42:45], v65 offset0:84 offset1:105
	ds_read2_b64 v[46:49], v65 offset0:126 offset1:147
	ds_read_b64 v[30:31], v65 offset:1344
	s_waitcnt lgkmcnt(0)
	; wave barrier
	s_waitcnt lgkmcnt(0)
	v_lshlrev_b32_e32 v28, 4, v28
	s_waitcnt vmcnt(1)
	v_pk_mul_f32 v[50:51], v[36:37], v[20:21] op_sel:[0,1]
	v_mov_b32_e32 v52, v23
	s_waitcnt vmcnt(0)
	v_pk_mul_f32 v[54:55], v[44:45], v[24:25] op_sel:[0,1]
	v_pk_mul_f32 v[80:81], v[42:43], v[20:21] op_sel:[0,1]
	v_mov_b32_e32 v78, v27
	v_pk_fma_f32 v[82:83], v[44:45], v[24:25], v[54:55] op_sel:[0,0,1] op_sel_hi:[1,1,0] neg_lo:[0,0,1] neg_hi:[0,0,1]
	v_pk_fma_f32 v[44:45], v[44:45], v[24:25], v[54:55] op_sel:[0,0,1] op_sel_hi:[1,0,0]
	v_pk_fma_f32 v[54:55], v[42:43], v[20:21], v[80:81] op_sel:[0,0,1] op_sel_hi:[1,1,0] neg_lo:[0,0,1] neg_hi:[0,0,1]
	v_pk_fma_f32 v[42:43], v[42:43], v[20:21], v[80:81] op_sel:[0,0,1] op_sel_hi:[1,0,0]
	;; [unrolled: 2-line block ×3, first 2 shown]
	v_pk_mul_f32 v[50:51], v[46:47], v[52:53] op_sel_hi:[1,0]
	v_pk_mul_f32 v[78:79], v[30:31], v[78:79] op_sel_hi:[1,0]
	;; [unrolled: 1-line block ×3, first 2 shown]
	v_mov_b32_e32 v81, v37
	v_pk_fma_f32 v[36:37], v[46:47], v[22:23], v[50:51] op_sel:[0,0,1] op_sel_hi:[1,1,0] neg_lo:[0,0,1] neg_hi:[0,0,1]
	v_pk_fma_f32 v[46:47], v[46:47], v[22:23], v[50:51] op_sel:[0,0,1] op_sel_hi:[1,0,0]
	v_mov_b32_e32 v83, v45
	v_pk_fma_f32 v[44:45], v[30:31], v[26:27], v[78:79] op_sel:[0,0,1] op_sel_hi:[1,1,0] neg_lo:[0,0,1] neg_hi:[0,0,1]
	v_pk_fma_f32 v[30:31], v[30:31], v[26:27], v[78:79] op_sel:[0,0,1] op_sel_hi:[1,0,0]
	;; [unrolled: 3-line block ×3, first 2 shown]
	v_mov_b32_e32 v37, v47
	v_pk_add_f32 v[46:47], v[38:39], v[80:81]
	v_mov_b32_e32 v45, v31
	v_mov_b32_e32 v43, v49
	v_pk_add_f32 v[30:31], v[80:81], v[36:37]
	v_pk_add_f32 v[48:49], v[80:81], v[36:37] neg_lo:[0,1] neg_hi:[0,1]
	v_pk_add_f32 v[36:37], v[46:47], v[36:37]
	v_pk_add_f32 v[46:47], v[82:83], v[44:45]
	v_pk_add_f32 v[50:51], v[82:83], v[44:45] neg_lo:[0,1] neg_hi:[0,1]
	v_pk_add_f32 v[52:53], v[54:55], v[42:43]
	v_pk_add_f32 v[78:79], v[54:55], v[42:43] neg_lo:[0,1] neg_hi:[0,1]
	v_pk_fma_f32 v[30:31], v[30:31], 0.5, v[38:39] op_sel_hi:[1,0,1] neg_lo:[1,0,0] neg_hi:[1,0,0]
	v_pk_mul_f32 v[38:39], v[48:49], s[8:9] op_sel_hi:[1,0]
	v_pk_fma_f32 v[46:47], v[46:47], 0.5, v[34:35] op_sel_hi:[1,0,1] neg_lo:[1,0,0] neg_hi:[1,0,0]
	v_pk_mul_f32 v[48:49], v[50:51], s[8:9] op_sel_hi:[1,0]
	;; [unrolled: 2-line block ×3, first 2 shown]
	v_pk_add_f32 v[78:79], v[30:31], v[38:39] op_sel:[0,1] op_sel_hi:[1,0]
	v_pk_add_f32 v[30:31], v[30:31], v[38:39] op_sel:[0,1] op_sel_hi:[1,0] neg_lo:[0,1] neg_hi:[0,1]
	v_pk_add_f32 v[38:39], v[46:47], v[48:49] op_sel:[0,1] op_sel_hi:[1,0] neg_lo:[0,1] neg_hi:[0,1]
	v_pk_add_f32 v[46:47], v[46:47], v[48:49] op_sel:[0,1] op_sel_hi:[1,0]
	v_pk_add_f32 v[48:49], v[50:51], v[52:53] op_sel:[0,1] op_sel_hi:[1,0] neg_lo:[0,1] neg_hi:[0,1]
	v_pk_add_f32 v[50:51], v[50:51], v[52:53] op_sel:[0,1] op_sel_hi:[1,0]
	v_mov_b32_e32 v52, v78
	v_mov_b32_e32 v53, v31
	ds_write2_b64 v65, v[36:37], v[52:53] offset1:21
	v_pk_add_f32 v[36:37], v[40:41], v[54:55]
	v_mov_b32_e32 v31, v79
	v_pk_add_f32 v[36:37], v[36:37], v[42:43]
	ds_write2_b64 v65, v[30:31], v[36:37] offset0:42 offset1:63
	v_mov_b32_e32 v30, v50
	v_mov_b32_e32 v31, v49
	;; [unrolled: 1-line block ×3, first 2 shown]
	ds_write2_b64 v65, v[30:31], v[48:49] offset0:84 offset1:105
	v_pk_add_f32 v[30:31], v[34:35], v[82:83]
	v_mov_b32_e32 v34, v46
	v_pk_add_f32 v[30:31], v[30:31], v[44:45]
	v_mov_b32_e32 v35, v39
	v_mov_b32_e32 v39, v47
	v_lshlrev_b32_e32 v40, 4, v32
	ds_write2_b64 v119, v[30:31], v[34:35] offset0:126 offset1:147
	ds_write_b64 v119, v[38:39] offset:1344
	s_waitcnt lgkmcnt(0)
	; wave barrier
	s_waitcnt lgkmcnt(0)
	global_load_dwordx4 v[28:31], v28, s[0:1] offset:448
	s_nop 0
	global_load_dwordx4 v[32:35], v40, s[0:1] offset:448
	global_load_dwordx4 v[36:39], v59, s[0:1] offset:448
	ds_read2_b64 v[40:43], v65 offset0:84 offset1:105
	ds_read2_b64 v[44:47], v65 offset0:42 offset1:63
	ds_read_b64 v[78:79], v65 offset:1344
	ds_read2_b64 v[48:51], v65 offset0:126 offset1:147
	ds_read2_b64 v[52:55], v65 offset1:21
	v_lshl_add_u32 v59, v58, 3, v113
	s_add_u32 s0, s12, 0x5e8
	s_addc_u32 s1, s13, 0
	s_waitcnt vmcnt(2) lgkmcnt(4)
	v_pk_mul_f32 v[80:81], v[42:43], v[28:29] op_sel:[0,1]
	s_waitcnt vmcnt(1)
	v_pk_mul_f32 v[84:85], v[40:41], v[32:33] op_sel:[0,1]
	v_mov_b32_e32 v86, v35
	s_waitcnt vmcnt(0) lgkmcnt(3)
	v_pk_mul_f32 v[88:89], v[46:47], v[36:37] op_sel:[0,1]
	v_mov_b32_e32 v90, v39
	v_mov_b32_e32 v82, v31
	v_pk_fma_f32 v[92:93], v[42:43], v[28:29], v[80:81] op_sel:[0,0,1] op_sel_hi:[1,1,0] neg_lo:[0,0,1] neg_hi:[0,0,1]
	v_pk_fma_f32 v[42:43], v[42:43], v[28:29], v[80:81] op_sel:[0,0,1] op_sel_hi:[1,0,0]
	v_pk_fma_f32 v[80:81], v[40:41], v[32:33], v[84:85] op_sel:[0,0,1] op_sel_hi:[1,1,0] neg_lo:[0,0,1] neg_hi:[0,0,1]
	v_pk_fma_f32 v[40:41], v[40:41], v[32:33], v[84:85] op_sel:[0,0,1] op_sel_hi:[1,0,0]
	s_waitcnt lgkmcnt(1)
	v_pk_mul_f32 v[84:85], v[50:51], v[86:87] op_sel_hi:[1,0]
	v_pk_fma_f32 v[86:87], v[46:47], v[36:37], v[88:89] op_sel:[0,0,1] op_sel_hi:[1,1,0] neg_lo:[0,0,1] neg_hi:[0,0,1]
	v_pk_fma_f32 v[46:47], v[46:47], v[36:37], v[88:89] op_sel:[0,0,1] op_sel_hi:[1,0,0]
	v_pk_mul_f32 v[88:89], v[48:49], v[90:91] op_sel_hi:[1,0]
	v_pk_mul_f32 v[82:83], v[78:79], v[82:83] op_sel_hi:[1,0]
	v_mov_b32_e32 v87, v47
	v_pk_fma_f32 v[46:47], v[48:49], v[38:39], v[88:89] op_sel:[0,0,1] op_sel_hi:[1,1,0] neg_lo:[0,0,1] neg_hi:[0,0,1]
	v_pk_fma_f32 v[48:49], v[48:49], v[38:39], v[88:89] op_sel:[0,0,1] op_sel_hi:[1,0,0]
	v_mov_b32_e32 v93, v43
	v_pk_fma_f32 v[90:91], v[78:79], v[30:31], v[82:83] op_sel:[0,0,1] op_sel_hi:[1,1,0] neg_lo:[0,0,1] neg_hi:[0,0,1]
	v_pk_fma_f32 v[42:43], v[78:79], v[30:31], v[82:83] op_sel:[0,0,1] op_sel_hi:[1,0,0]
	v_mov_b32_e32 v81, v41
	v_pk_fma_f32 v[78:79], v[50:51], v[34:35], v[84:85] op_sel:[0,0,1] op_sel_hi:[1,1,0] neg_lo:[0,0,1] neg_hi:[0,0,1]
	v_pk_fma_f32 v[40:41], v[50:51], v[34:35], v[84:85] op_sel:[0,0,1] op_sel_hi:[1,0,0]
	v_mov_b32_e32 v47, v49
	v_mov_b32_e32 v91, v43
	;; [unrolled: 1-line block ×3, first 2 shown]
	s_waitcnt lgkmcnt(0)
	v_pk_add_f32 v[40:41], v[54:55], v[80:81]
	v_pk_add_f32 v[42:43], v[52:53], v[86:87]
	;; [unrolled: 1-line block ×3, first 2 shown]
	v_pk_add_f32 v[50:51], v[86:87], v[46:47] neg_lo:[0,1] neg_hi:[0,1]
	v_pk_add_f32 v[82:83], v[92:93], v[90:91]
	v_pk_add_f32 v[42:43], v[42:43], v[46:47]
	v_pk_add_f32 v[46:47], v[92:93], v[90:91] neg_lo:[0,1] neg_hi:[0,1]
	v_pk_add_f32 v[40:41], v[40:41], v[78:79]
	v_pk_fma_f32 v[48:49], v[48:49], 0.5, v[52:53] op_sel_hi:[1,0,1] neg_lo:[1,0,0] neg_hi:[1,0,0]
	v_pk_mul_f32 v[50:51], v[50:51], s[8:9] op_sel_hi:[1,0]
	ds_write_b64 v65, v[42:43]
	v_pk_fma_f32 v[42:43], v[82:83], 0.5, v[44:45] op_sel_hi:[1,0,1] neg_lo:[1,0,0] neg_hi:[1,0,0]
	v_pk_mul_f32 v[46:47], v[46:47], s[8:9] op_sel_hi:[1,0]
	ds_write_b64 v59, v[40:41] offset:168
	v_pk_add_f32 v[40:41], v[48:49], v[50:51] op_sel:[0,1] op_sel_hi:[1,0]
	v_pk_add_f32 v[48:49], v[48:49], v[50:51] op_sel:[0,1] op_sel_hi:[1,0] neg_lo:[0,1] neg_hi:[0,1]
	v_pk_add_f32 v[50:51], v[42:43], v[46:47] op_sel:[0,1] op_sel_hi:[1,0]
	v_pk_add_f32 v[42:43], v[42:43], v[46:47] op_sel:[0,1] op_sel_hi:[1,0] neg_lo:[0,1] neg_hi:[0,1]
	v_mov_b32_e32 v46, v40
	v_mov_b32_e32 v47, v49
	;; [unrolled: 1-line block ×3, first 2 shown]
	v_pk_add_f32 v[84:85], v[80:81], v[78:79]
	ds_write2_b64 v59, v[46:47], v[48:49] offset0:63 offset1:126
	v_pk_add_f32 v[48:49], v[80:81], v[78:79] neg_lo:[0,1] neg_hi:[0,1]
	v_pk_fma_f32 v[46:47], v[84:85], 0.5, v[54:55] op_sel_hi:[1,0,1] neg_lo:[1,0,0] neg_hi:[1,0,0]
	v_pk_mul_f32 v[48:49], v[48:49], s[8:9] op_sel_hi:[1,0]
	v_mov_b32_e32 v40, v50
	v_mov_b32_e32 v41, v43
	;; [unrolled: 1-line block ×3, first 2 shown]
	v_pk_add_f32 v[50:51], v[46:47], v[48:49] op_sel:[0,1] op_sel_hi:[1,0]
	v_pk_add_f32 v[46:47], v[46:47], v[48:49] op_sel:[0,1] op_sel_hi:[1,0] neg_lo:[0,1] neg_hi:[0,1]
	v_pk_add_f32 v[44:45], v[44:45], v[92:93]
	v_mov_b32_e32 v48, v50
	v_mov_b32_e32 v49, v47
	;; [unrolled: 1-line block ×3, first 2 shown]
	v_pk_add_f32 v[44:45], v[44:45], v[90:91]
	ds_write_b64 v65, v[48:49] offset:672
	ds_write_b64 v65, v[46:47] offset:1176
	;; [unrolled: 1-line block ×5, first 2 shown]
	s_waitcnt lgkmcnt(0)
	; wave barrier
	s_waitcnt lgkmcnt(0)
	global_load_dwordx2 v[54:55], v[56:57], off offset:1512
	v_lshlrev_b32_e32 v44, 3, v58
	global_load_dwordx2 v[82:83], v44, s[0:1] offset:216
	global_load_dwordx2 v[84:85], v44, s[0:1] offset:432
	;; [unrolled: 1-line block ×6, first 2 shown]
	ds_read2_b64 v[46:49], v65 offset1:27
	ds_read2_b64 v[50:53], v65 offset0:54 offset1:81
	ds_read2_b64 v[78:81], v65 offset0:108 offset1:135
	ds_read_b64 v[94:95], v65 offset:1296
	s_waitcnt vmcnt(5) lgkmcnt(3)
	v_mul_f32_e32 v98, v49, v83
	s_waitcnt vmcnt(4) lgkmcnt(2)
	v_mul_f32_e32 v99, v51, v85
	s_waitcnt vmcnt(3)
	v_mul_f32_e32 v100, v53, v87
	v_mul_f32_e32 v45, v47, v55
	;; [unrolled: 1-line block ×6, first 2 shown]
	s_waitcnt vmcnt(2) lgkmcnt(1)
	v_mul_f32_e32 v101, v79, v89
	v_mul_f32_e32 v87, v78, v89
	s_waitcnt vmcnt(1)
	v_mul_f32_e32 v102, v81, v91
	v_mul_f32_e32 v89, v80, v91
	s_waitcnt vmcnt(0) lgkmcnt(0)
	v_mul_f32_e32 v103, v95, v93
	v_mul_f32_e32 v91, v94, v93
	v_fma_f32 v96, v46, v54, -v45
	v_fmac_f32_e32 v97, v47, v54
	v_fma_f32 v54, v48, v82, -v98
	v_fmac_f32_e32 v55, v49, v82
	;; [unrolled: 2-line block ×7, first 2 shown]
	ds_write2_b64 v65, v[96:97], v[54:55] offset1:27
	ds_write2_b64 v65, v[82:83], v[84:85] offset0:54 offset1:81
	ds_write2_b64 v65, v[86:87], v[88:89] offset0:108 offset1:135
	ds_write_b64 v65, v[90:91] offset:1296
	s_and_saveexec_b64 s[8:9], vcc
	s_cbranch_execz .LBB0_9
; %bb.8:
	v_mov_b32_e32 v45, 0
	v_lshl_add_u64 v[44:45], s[0:1], 0, v[44:45]
	global_load_dwordx2 v[78:79], v[44:45], off offset:168
	global_load_dwordx2 v[80:81], v[44:45], off offset:384
	;; [unrolled: 1-line block ×7, first 2 shown]
	ds_read2_b64 v[44:47], v59 offset0:21 offset1:48
	ds_read2_b64 v[48:51], v59 offset0:75 offset1:102
	ds_read2_b64 v[52:55], v59 offset0:129 offset1:156
	ds_read_b64 v[92:93], v59 offset:1464
	s_waitcnt vmcnt(6) lgkmcnt(3)
	v_mul_f32_e32 v94, v45, v79
	v_mul_f32_e32 v95, v44, v79
	s_waitcnt vmcnt(5)
	v_mul_f32_e32 v96, v47, v81
	v_mul_f32_e32 v79, v46, v81
	s_waitcnt vmcnt(4) lgkmcnt(2)
	v_mul_f32_e32 v97, v49, v83
	v_mul_f32_e32 v81, v48, v83
	s_waitcnt vmcnt(3)
	v_mul_f32_e32 v98, v51, v85
	v_mul_f32_e32 v83, v50, v85
	;; [unrolled: 6-line block ×3, first 2 shown]
	s_waitcnt vmcnt(0) lgkmcnt(0)
	v_mul_f32_e32 v101, v93, v91
	v_mul_f32_e32 v89, v92, v91
	v_fma_f32 v94, v44, v78, -v94
	v_fmac_f32_e32 v95, v45, v78
	v_fma_f32 v78, v46, v80, -v96
	v_fmac_f32_e32 v79, v47, v80
	;; [unrolled: 2-line block ×7, first 2 shown]
	ds_write2_b64 v59, v[94:95], v[78:79] offset0:21 offset1:48
	ds_write2_b64 v59, v[80:81], v[82:83] offset0:75 offset1:102
	;; [unrolled: 1-line block ×3, first 2 shown]
	ds_write_b64 v59, v[88:89] offset:1464
.LBB0_9:
	s_or_b64 exec, exec, s[8:9]
	s_waitcnt lgkmcnt(0)
	; wave barrier
	s_waitcnt lgkmcnt(0)
	ds_read2_b64 v[48:51], v65 offset1:27
	ds_read2_b64 v[44:47], v65 offset0:54 offset1:81
	ds_read2_b64 v[52:55], v65 offset0:108 offset1:135
	ds_read_b64 v[110:111], v65 offset:1296
	s_and_saveexec_b64 s[0:1], vcc
	s_cbranch_execz .LBB0_11
; %bb.10:
	ds_read2_b64 v[40:43], v59 offset0:21 offset1:48
	ds_read2_b64 v[0:3], v59 offset0:75 offset1:102
	;; [unrolled: 1-line block ×3, first 2 shown]
	ds_read_b64 v[76:77], v59 offset:1464
.LBB0_11:
	s_or_b64 exec, exec, s[0:1]
	s_waitcnt lgkmcnt(0)
	v_pk_add_f32 v[122:123], v[50:51], v[110:111]
	v_pk_add_f32 v[124:125], v[44:45], v[54:55]
	v_pk_add_f32 v[126:127], v[46:47], v[52:53]
	v_pk_add_f32 v[128:129], v[124:125], v[122:123]
	v_pk_add_f32 v[44:45], v[44:45], v[54:55] neg_lo:[0,1] neg_hi:[0,1]
	v_pk_add_f32 v[46:47], v[52:53], v[46:47] neg_lo:[0,1] neg_hi:[0,1]
	v_mov_b32_e32 v52, v126
	v_mov_b32_e32 v53, v123
	;; [unrolled: 1-line block ×4, first 2 shown]
	v_pk_add_f32 v[128:129], v[126:127], v[128:129]
	v_pk_add_f32 v[50:51], v[50:51], v[110:111] neg_lo:[0,1] neg_hi:[0,1]
	v_pk_add_f32 v[52:53], v[52:53], v[54:55] neg_lo:[0,1] neg_hi:[0,1]
	v_mov_b32_e32 v54, v122
	v_mov_b32_e32 v127, v125
	s_mov_b32 s12, 0xbeae86e6
	v_pk_add_f32 v[54:55], v[54:55], v[126:127] neg_lo:[0,1] neg_hi:[0,1]
	v_mov_b32_e32 v126, v47
	v_mov_b32_e32 v127, v50
	;; [unrolled: 1-line block ×4, first 2 shown]
	s_mov_b32 s14, 0x3d64c772
	s_mov_b32 s13, 0x3f08b237
	v_pk_add_f32 v[110:111], v[46:47], v[44:45]
	v_pk_add_f32 v[126:127], v[126:127], v[130:131] neg_lo:[0,1] neg_hi:[0,1]
	v_mov_b32_e32 v130, v51
	v_mov_b32_e32 v46, v47
	v_mov_b32_e32 v47, v44
	s_mov_b32 s15, 0x3f4a47b2
	s_mov_b32 s18, s13
	;; [unrolled: 1-line block ×3, first 2 shown]
	v_pk_add_f32 v[48:49], v[48:49], v[128:129]
	v_pk_add_f32 v[46:47], v[130:131], v[46:47] neg_lo:[0,1] neg_hi:[0,1]
	v_pk_add_f32 v[110:111], v[110:111], v[50:51]
	v_pk_mul_f32 v[52:53], v[52:53], s[14:15]
	s_mov_b32 s22, s15
	s_mov_b32 s23, s14
	;; [unrolled: 1-line block ×3, first 2 shown]
	v_pk_mul_f32 v[126:127], v[126:127], s[18:19]
	s_mov_b32 s16, 0xbf955555
	v_pk_mul_f32 v[130:131], v[54:55], s[22:23]
	v_pk_mul_f32 v[132:133], v[110:111], s[0:1] op_sel_hi:[1,0]
	v_pk_mul_f32 v[134:135], v[46:47], s[12:13]
	v_pk_fma_f32 v[54:55], v[54:55], s[22:23], v[52:53]
	v_pk_fma_f32 v[46:47], v[46:47], s[12:13], v[126:127]
	v_pk_fma_f32 v[128:129], v[128:129], s[16:17], v[48:49] op_sel_hi:[1,0,1]
	v_pk_add_f32 v[46:47], v[132:133], v[46:47] op_sel:[1,0] op_sel_hi:[0,1]
	v_pk_add_f32 v[54:55], v[54:55], v[128:129]
	s_nop 0
	v_pk_add_f32 v[132:133], v[54:55], v[46:47]
	v_pk_add_f32 v[46:47], v[54:55], v[46:47] neg_lo:[0,1] neg_hi:[0,1]
	v_mov_b32_e32 v54, v132
	v_mov_b32_e32 v55, v47
	; wave barrier
	ds_write2_b64 v114, v[48:49], v[54:55] offset1:1
	v_pk_add_f32 v[48:49], v[124:125], v[122:123] neg_lo:[0,1] neg_hi:[0,1]
	s_mov_b32 s8, 0x3f3bfb3b
	v_pk_add_f32 v[44:45], v[44:45], v[50:51] neg_lo:[0,1] neg_hi:[0,1]
	v_mov_b32_e32 v50, v130
	v_mov_b32_e32 v51, v53
	;; [unrolled: 1-line block ×3, first 2 shown]
	s_mov_b32 s10, 0xbf5ff5aa
	v_pk_fma_f32 v[50:51], v[48:49], s[8:9], v[50:51] op_sel_hi:[1,0,1] neg_lo:[1,0,1] neg_hi:[1,0,1]
	v_mov_b32_e32 v54, v127
	v_mov_b32_e32 v55, v134
	v_pk_fma_f32 v[48:49], v[48:49], s[8:9], v[52:53] op_sel_hi:[1,0,1] neg_lo:[0,0,1] neg_hi:[0,0,1]
	v_mov_b32_e32 v52, v135
	v_mov_b32_e32 v53, v126
	v_pk_fma_f32 v[54:55], v[44:45], s[10:11], v[54:55] op_sel_hi:[1,0,1] neg_lo:[1,0,1] neg_hi:[1,0,1]
	v_pk_fma_f32 v[44:45], v[44:45], s[10:11], v[52:53] op_sel_hi:[1,0,1] neg_lo:[0,0,1] neg_hi:[0,0,1]
	v_pk_fma_f32 v[54:55], v[110:111], s[0:1], v[54:55] op_sel_hi:[1,0,1]
	v_pk_add_f32 v[50:51], v[50:51], v[128:129]
	v_pk_fma_f32 v[44:45], v[110:111], s[0:1], v[44:45] op_sel_hi:[1,0,1]
	v_pk_add_f32 v[48:49], v[48:49], v[128:129]
	v_pk_add_f32 v[122:123], v[50:51], v[54:55] op_sel:[0,1] op_sel_hi:[1,0]
	v_pk_add_f32 v[50:51], v[50:51], v[54:55] op_sel:[0,1] op_sel_hi:[1,0] neg_lo:[0,1] neg_hi:[0,1]
	v_pk_add_f32 v[52:53], v[48:49], v[44:45] op_sel:[0,1] op_sel_hi:[1,0] neg_lo:[0,1] neg_hi:[0,1]
	v_pk_add_f32 v[44:45], v[48:49], v[44:45] op_sel:[0,1] op_sel_hi:[1,0]
	v_mov_b32_e32 v108, v16
	v_mov_b32_e32 v109, v16
	;; [unrolled: 1-line block ×48, first 2 shown]
	v_add_u32_e32 v121, 0xa8, v65
	v_add_u32_e32 v120, 0x150, v65
	v_mov_b32_e32 v48, v122
	v_mov_b32_e32 v49, v51
	;; [unrolled: 1-line block ×7, first 2 shown]
	ds_write2_b64 v114, v[48:49], v[54:55] offset0:2 offset1:3
	ds_write2_b64 v114, v[44:45], v[50:51] offset0:4 offset1:5
	ds_write_b64 v114, v[46:47] offset:48
	s_and_saveexec_b64 s[20:21], vcc
	s_cbranch_execz .LBB0_13
; %bb.12:
	v_pk_add_f32 v[44:45], v[76:77], v[42:43]
	v_pk_add_f32 v[48:49], v[6:7], v[0:1]
	;; [unrolled: 1-line block ×4, first 2 shown]
	v_mov_b32_e32 v54, v46
	v_pk_add_f32 v[50:51], v[46:47], v[50:51]
	v_mov_b32_e32 v110, v46
	v_mov_b32_e32 v111, v45
	;; [unrolled: 1-line block ×3, first 2 shown]
	v_pk_add_f32 v[42:43], v[42:43], v[76:77] neg_lo:[0,1] neg_hi:[0,1]
	v_pk_add_f32 v[2:3], v[4:5], v[2:3] neg_lo:[0,1] neg_hi:[0,1]
	;; [unrolled: 1-line block ×3, first 2 shown]
	v_mov_b32_e32 v53, v47
	v_pk_add_f32 v[46:47], v[110:111], v[46:47] neg_lo:[0,1] neg_hi:[0,1]
	v_mov_b32_e32 v76, v3
	v_mov_b32_e32 v77, v42
	v_mov_b32_e32 v110, v1
	v_mov_b32_e32 v111, v2
	v_mov_b32_e32 v52, v44
	v_mov_b32_e32 v55, v49
	v_mov_b32_e32 v4, v43
	v_mov_b32_e32 v5, v2
	v_mov_b32_e32 v6, v3
	v_mov_b32_e32 v7, v0
	v_pk_add_f32 v[76:77], v[76:77], v[110:111] neg_lo:[0,1] neg_hi:[0,1]
	v_pk_add_f32 v[2:3], v[2:3], v[0:1]
	v_pk_add_f32 v[40:41], v[40:41], v[50:51]
	v_pk_add_f32 v[52:53], v[52:53], v[54:55] neg_lo:[0,1] neg_hi:[0,1]
	v_pk_mul_f32 v[46:47], v[46:47], s[14:15]
	v_pk_add_f32 v[4:5], v[4:5], v[6:7] neg_lo:[0,1] neg_hi:[0,1]
	v_pk_mul_f32 v[76:77], v[76:77], s[18:19]
	v_pk_add_f32 v[2:3], v[2:3], v[42:43]
	v_pk_mul_f32 v[54:55], v[52:53], s[22:23]
	v_pk_fma_f32 v[52:53], v[52:53], s[22:23], v[46:47]
	v_pk_mul_f32 v[6:7], v[4:5], s[12:13]
	v_pk_fma_f32 v[4:5], v[4:5], s[12:13], v[76:77]
	v_pk_mul_f32 v[110:111], v[2:3], s[0:1] op_sel_hi:[1,0]
	v_pk_fma_f32 v[50:51], v[50:51], s[16:17], v[40:41] op_sel_hi:[1,0,1]
	v_pk_add_f32 v[4:5], v[110:111], v[4:5] op_sel:[1,0] op_sel_hi:[0,1]
	v_pk_add_f32 v[52:53], v[52:53], v[50:51]
	v_lshl_add_u32 v113, v116, 3, v113
	v_pk_add_f32 v[110:111], v[52:53], v[4:5]
	v_pk_add_f32 v[4:5], v[52:53], v[4:5] neg_lo:[0,1] neg_hi:[0,1]
	v_mov_b32_e32 v52, v110
	v_mov_b32_e32 v53, v5
	v_pk_add_f32 v[0:1], v[0:1], v[42:43] neg_lo:[0,1] neg_hi:[0,1]
	v_mov_b32_e32 v42, v77
	v_mov_b32_e32 v43, v6
	;; [unrolled: 1-line block ×4, first 2 shown]
	ds_write2_b64 v113, v[40:41], v[52:53] offset1:1
	v_pk_add_f32 v[40:41], v[48:49], v[44:45] neg_lo:[0,1] neg_hi:[0,1]
	v_mov_b32_e32 v44, v54
	v_mov_b32_e32 v45, v47
	v_pk_fma_f32 v[42:43], v[0:1], s[10:11], v[42:43] op_sel_hi:[1,0,1] neg_lo:[1,0,1] neg_hi:[1,0,1]
	v_pk_fma_f32 v[0:1], v[0:1], s[10:11], v[6:7] op_sel_hi:[1,0,1] neg_lo:[0,0,1] neg_hi:[0,0,1]
	v_mov_b32_e32 v47, v55
	v_pk_fma_f32 v[44:45], v[40:41], s[8:9], v[44:45] op_sel_hi:[1,0,1] neg_lo:[1,0,1] neg_hi:[1,0,1]
	v_pk_fma_f32 v[42:43], v[2:3], s[0:1], v[42:43] op_sel_hi:[1,0,1]
	v_pk_fma_f32 v[0:1], v[2:3], s[0:1], v[0:1] op_sel_hi:[1,0,1]
	v_pk_fma_f32 v[2:3], v[40:41], s[8:9], v[46:47] op_sel_hi:[1,0,1] neg_lo:[0,0,1] neg_hi:[0,0,1]
	v_pk_add_f32 v[44:45], v[44:45], v[50:51]
	v_pk_add_f32 v[2:3], v[2:3], v[50:51]
	v_pk_add_f32 v[48:49], v[44:45], v[42:43] op_sel:[0,1] op_sel_hi:[1,0]
	v_pk_add_f32 v[42:43], v[44:45], v[42:43] op_sel:[0,1] op_sel_hi:[1,0] neg_lo:[0,1] neg_hi:[0,1]
	v_pk_add_f32 v[6:7], v[2:3], v[0:1] op_sel:[0,1] op_sel_hi:[1,0] neg_lo:[0,1] neg_hi:[0,1]
	v_pk_add_f32 v[0:1], v[2:3], v[0:1] op_sel:[0,1] op_sel_hi:[1,0]
	v_mov_b32_e32 v2, v48
	v_mov_b32_e32 v3, v43
	;; [unrolled: 1-line block ×7, first 2 shown]
	ds_write2_b64 v113, v[2:3], v[40:41] offset0:2 offset1:3
	ds_write2_b64 v113, v[0:1], v[42:43] offset0:4 offset1:5
	ds_write_b64 v113, v[4:5] offset:48
.LBB0_13:
	s_or_b64 exec, exec, s[20:21]
	s_waitcnt lgkmcnt(0)
	; wave barrier
	s_waitcnt lgkmcnt(0)
	ds_read2_b64 v[0:3], v65 offset0:84 offset1:105
	ds_read2_b64 v[4:7], v65 offset0:42 offset1:63
	ds_read_b64 v[40:41], v65 offset:1344
	s_mov_b32 s0, 0x3f5db3d7
	s_waitcnt lgkmcnt(2)
	v_pk_mul_f32 v[16:17], v[16:17], v[2:3]
	s_nop 0
	v_pk_fma_f32 v[44:45], v[108:109], v[2:3], v[16:17] op_sel:[0,0,1] op_sel_hi:[1,1,0]
	v_pk_fma_f32 v[2:3], v[108:109], v[2:3], v[16:17] op_sel:[0,0,1] op_sel_hi:[1,1,0] neg_lo:[0,0,1] neg_hi:[0,0,1]
	v_pk_mul_f32 v[12:13], v[12:13], v[0:1]
	v_mov_b32_e32 v45, v3
	s_waitcnt lgkmcnt(0)
	v_pk_mul_f32 v[2:3], v[18:19], v[40:41]
	v_pk_fma_f32 v[48:49], v[104:105], v[0:1], v[12:13] op_sel:[0,0,1] op_sel_hi:[1,1,0]
	v_pk_fma_f32 v[46:47], v[106:107], v[40:41], v[2:3] op_sel:[0,0,1] op_sel_hi:[1,1,0]
	v_pk_fma_f32 v[2:3], v[106:107], v[40:41], v[2:3] op_sel:[0,0,1] op_sel_hi:[1,1,0] neg_lo:[0,0,1] neg_hi:[0,0,1]
	ds_read2_b64 v[16:19], v65 offset1:21
	ds_read2_b64 v[40:43], v65 offset0:126 offset1:147
	v_pk_fma_f32 v[0:1], v[104:105], v[0:1], v[12:13] op_sel:[0,0,1] op_sel_hi:[1,1,0] neg_lo:[0,0,1] neg_hi:[0,0,1]
	v_pk_mul_f32 v[8:9], v[8:9], v[6:7]
	v_mov_b32_e32 v49, v1
	s_waitcnt lgkmcnt(0)
	v_pk_mul_f32 v[0:1], v[14:15], v[42:43]
	v_pk_fma_f32 v[14:15], v[100:101], v[6:7], v[8:9] op_sel:[0,0,1] op_sel_hi:[1,1,0]
	v_pk_fma_f32 v[6:7], v[100:101], v[6:7], v[8:9] op_sel:[0,0,1] op_sel_hi:[1,1,0] neg_lo:[0,0,1] neg_hi:[0,0,1]
	v_pk_fma_f32 v[12:13], v[102:103], v[42:43], v[0:1] op_sel:[0,0,1] op_sel_hi:[1,1,0]
	v_mov_b32_e32 v15, v7
	v_pk_mul_f32 v[6:7], v[10:11], v[40:41]
	v_pk_fma_f32 v[0:1], v[102:103], v[42:43], v[0:1] op_sel:[0,0,1] op_sel_hi:[1,1,0] neg_lo:[0,0,1] neg_hi:[0,0,1]
	v_pk_fma_f32 v[8:9], v[98:99], v[40:41], v[6:7] op_sel:[0,0,1] op_sel_hi:[1,1,0]
	v_pk_fma_f32 v[6:7], v[98:99], v[40:41], v[6:7] op_sel:[0,0,1] op_sel_hi:[1,1,0] neg_lo:[0,0,1] neg_hi:[0,0,1]
	v_mov_b32_e32 v13, v1
	v_mov_b32_e32 v9, v7
	v_pk_add_f32 v[6:7], v[16:17], v[14:15]
	v_pk_add_f32 v[10:11], v[14:15], v[8:9]
	v_pk_add_f32 v[6:7], v[6:7], v[8:9]
	v_pk_add_f32 v[8:9], v[14:15], v[8:9] neg_lo:[0,1] neg_hi:[0,1]
	v_pk_fma_f32 v[10:11], v[10:11], 0.5, v[16:17] op_sel_hi:[1,0,1] neg_lo:[1,0,0] neg_hi:[1,0,0]
	v_pk_mul_f32 v[8:9], v[8:9], s[0:1] op_sel_hi:[1,0]
	; wave barrier
	s_nop 0
	v_pk_add_f32 v[14:15], v[10:11], v[8:9] op_sel:[0,1] op_sel_hi:[1,0] neg_lo:[0,1] neg_hi:[0,1]
	v_pk_add_f32 v[8:9], v[10:11], v[8:9] op_sel:[0,1] op_sel_hi:[1,0]
	v_mov_b32_e32 v10, v14
	v_mov_b32_e32 v11, v9
	;; [unrolled: 1-line block ×3, first 2 shown]
	ds_write2_b64 v118, v[6:7], v[10:11] offset1:7
	ds_write_b64 v118, v[8:9] offset:112
	v_pk_add_f32 v[6:7], v[48:49], v[12:13]
	v_pk_add_f32 v[8:9], v[48:49], v[12:13] neg_lo:[0,1] neg_hi:[0,1]
	v_pk_fma_f32 v[6:7], v[6:7], 0.5, v[18:19] op_sel_hi:[1,0,1] neg_lo:[1,0,0] neg_hi:[1,0,0]
	v_pk_mul_f32 v[8:9], v[8:9], s[0:1] op_sel_hi:[1,0]
	v_pk_add_f32 v[0:1], v[18:19], v[48:49]
	v_pk_add_f32 v[10:11], v[6:7], v[8:9] op_sel:[0,1] op_sel_hi:[1,0] neg_lo:[0,1] neg_hi:[0,1]
	v_pk_add_f32 v[6:7], v[6:7], v[8:9] op_sel:[0,1] op_sel_hi:[1,0]
	v_mov_b32_e32 v47, v3
	v_pk_add_f32 v[0:1], v[0:1], v[12:13]
	v_mov_b32_e32 v8, v10
	v_mov_b32_e32 v9, v7
	ds_write2_b64 v117, v[0:1], v[8:9] offset1:7
	v_pk_add_f32 v[0:1], v[44:45], v[46:47]
	v_pk_add_f32 v[2:3], v[4:5], v[44:45]
	v_pk_fma_f32 v[0:1], v[0:1], 0.5, v[4:5] op_sel_hi:[1,0,1] neg_lo:[1,0,0] neg_hi:[1,0,0]
	v_pk_add_f32 v[4:5], v[44:45], v[46:47] neg_lo:[0,1] neg_hi:[0,1]
	v_mov_b32_e32 v7, v11
	v_pk_mul_f32 v[4:5], v[4:5], s[0:1] op_sel_hi:[1,0]
	ds_write_b64 v117, v[6:7] offset:112
	v_pk_add_f32 v[6:7], v[0:1], v[4:5] op_sel:[0,1] op_sel_hi:[1,0] neg_lo:[0,1] neg_hi:[0,1]
	v_pk_add_f32 v[0:1], v[0:1], v[4:5] op_sel:[0,1] op_sel_hi:[1,0]
	v_pk_add_f32 v[2:3], v[2:3], v[46:47]
	v_mov_b32_e32 v4, v6
	v_mov_b32_e32 v5, v1
	;; [unrolled: 1-line block ×3, first 2 shown]
	ds_write2_b64 v115, v[2:3], v[4:5] offset1:7
	ds_write_b64 v115, v[0:1] offset:112
	s_waitcnt lgkmcnt(0)
	; wave barrier
	s_waitcnt lgkmcnt(0)
	ds_read2_b64 v[0:3], v65 offset0:42 offset1:63
	ds_read2_b64 v[4:7], v65 offset1:21
	ds_read2_b64 v[8:11], v65 offset0:126 offset1:147
	v_mov_b32_e32 v16, s2
	v_mov_b32_e32 v17, s3
	s_waitcnt lgkmcnt(2)
	v_pk_mul_f32 v[12:13], v[20:21], v[2:3]
	s_nop 0
	v_pk_fma_f32 v[14:15], v[92:93], v[2:3], v[12:13] op_sel:[0,0,1] op_sel_hi:[1,1,0]
	v_pk_fma_f32 v[2:3], v[92:93], v[2:3], v[12:13] op_sel:[0,0,1] op_sel_hi:[1,1,0] neg_lo:[0,0,1] neg_hi:[0,0,1]
	s_nop 0
	v_mov_b32_e32 v15, v3
	s_waitcnt lgkmcnt(0)
	v_pk_mul_f32 v[2:3], v[22:23], v[8:9]
	s_nop 0
	v_pk_fma_f32 v[12:13], v[90:91], v[8:9], v[2:3] op_sel:[0,0,1] op_sel_hi:[1,1,0]
	v_pk_fma_f32 v[2:3], v[90:91], v[8:9], v[2:3] op_sel:[0,0,1] op_sel_hi:[1,1,0] neg_lo:[0,0,1] neg_hi:[0,0,1]
	s_nop 0
	v_mov_b32_e32 v13, v3
	v_pk_add_f32 v[2:3], v[4:5], v[14:15]
	s_nop 0
	v_pk_add_f32 v[8:9], v[2:3], v[12:13]
	v_pk_add_f32 v[2:3], v[14:15], v[12:13]
	v_pk_add_f32 v[12:13], v[14:15], v[12:13] neg_lo:[0,1] neg_hi:[0,1]
	v_pk_fma_f32 v[18:19], v[2:3], 0.5, v[4:5] op_sel_hi:[1,0,1] neg_lo:[1,0,0] neg_hi:[1,0,0]
	ds_read2_b64 v[2:5], v65 offset0:84 offset1:105
	v_pk_mul_f32 v[12:13], v[12:13], s[0:1] op_sel_hi:[1,0]
	s_waitcnt lgkmcnt(0)
	v_pk_mul_f32 v[24:25], v[24:25], v[4:5]
	v_pk_add_f32 v[14:15], v[18:19], v[12:13] op_sel:[0,1] op_sel_hi:[1,0] neg_lo:[0,1] neg_hi:[0,1]
	v_pk_add_f32 v[12:13], v[18:19], v[12:13] op_sel:[0,1] op_sel_hi:[1,0]
	ds_read_b64 v[18:19], v65 offset:1344
	v_pk_fma_f32 v[40:41], v[96:97], v[4:5], v[24:25] op_sel:[0,0,1] op_sel_hi:[1,1,0]
	v_pk_fma_f32 v[4:5], v[96:97], v[4:5], v[24:25] op_sel:[0,0,1] op_sel_hi:[1,1,0] neg_lo:[0,0,1] neg_hi:[0,0,1]
	s_waitcnt lgkmcnt(0)
	v_mov_b32_e32 v41, v5
	v_pk_mul_f32 v[4:5], v[26:27], v[18:19]
	; wave barrier
	s_nop 0
	v_pk_fma_f32 v[24:25], v[94:95], v[18:19], v[4:5] op_sel:[0,0,1] op_sel_hi:[1,1,0]
	v_pk_fma_f32 v[4:5], v[94:95], v[18:19], v[4:5] op_sel:[0,0,1] op_sel_hi:[1,1,0] neg_lo:[0,0,1] neg_hi:[0,0,1]
	s_nop 0
	v_mov_b32_e32 v25, v5
	v_pk_add_f32 v[4:5], v[40:41], v[24:25]
	v_pk_add_f32 v[18:19], v[40:41], v[24:25] neg_lo:[0,1] neg_hi:[0,1]
	v_pk_fma_f32 v[4:5], v[4:5], 0.5, v[0:1] op_sel_hi:[1,0,1] neg_lo:[1,0,0] neg_hi:[1,0,0]
	v_pk_mul_f32 v[18:19], v[18:19], s[0:1] op_sel_hi:[1,0]
	v_pk_add_f32 v[0:1], v[0:1], v[40:41]
	v_pk_add_f32 v[26:27], v[4:5], v[18:19] op_sel:[0,1] op_sel_hi:[1,0]
	v_pk_add_f32 v[4:5], v[4:5], v[18:19] op_sel:[0,1] op_sel_hi:[1,0] neg_lo:[0,1] neg_hi:[0,1]
	v_pk_mul_f32 v[18:19], v[20:21], v[2:3]
	v_pk_add_f32 v[0:1], v[0:1], v[24:25]
	v_pk_fma_f32 v[20:21], v[92:93], v[2:3], v[18:19] op_sel:[0,0,1] op_sel_hi:[1,1,0]
	v_pk_fma_f32 v[2:3], v[92:93], v[2:3], v[18:19] op_sel:[0,0,1] op_sel_hi:[1,1,0] neg_lo:[0,0,1] neg_hi:[0,0,1]
	s_nop 0
	v_mov_b32_e32 v21, v3
	v_pk_mul_f32 v[2:3], v[22:23], v[10:11]
	s_nop 0
	v_pk_fma_f32 v[18:19], v[90:91], v[10:11], v[2:3] op_sel:[0,0,1] op_sel_hi:[1,1,0]
	v_pk_fma_f32 v[2:3], v[90:91], v[10:11], v[2:3] op_sel:[0,0,1] op_sel_hi:[1,1,0] neg_lo:[0,0,1] neg_hi:[0,0,1]
	s_nop 0
	v_mov_b32_e32 v19, v3
	v_pk_add_f32 v[2:3], v[20:21], v[18:19]
	v_pk_add_f32 v[10:11], v[20:21], v[18:19] neg_lo:[0,1] neg_hi:[0,1]
	v_pk_fma_f32 v[2:3], v[2:3], 0.5, v[6:7] op_sel_hi:[1,0,1] neg_lo:[1,0,0] neg_hi:[1,0,0]
	v_pk_mul_f32 v[10:11], v[10:11], s[0:1] op_sel_hi:[1,0]
	v_pk_add_f32 v[6:7], v[6:7], v[20:21]
	v_pk_add_f32 v[22:23], v[2:3], v[10:11] op_sel:[0,1] op_sel_hi:[1,0]
	v_pk_add_f32 v[2:3], v[2:3], v[10:11] op_sel:[0,1] op_sel_hi:[1,0] neg_lo:[0,1] neg_hi:[0,1]
	v_mov_b32_e32 v11, v13
	v_mov_b32_e32 v13, v15
	v_pk_add_f32 v[6:7], v[6:7], v[18:19]
	v_mov_b32_e32 v10, v14
	ds_write2_b64 v65, v[12:13], v[6:7] offset0:42 offset1:63
	v_mov_b32_e32 v6, v2
	v_mov_b32_e32 v7, v23
	;; [unrolled: 1-line block ×6, first 2 shown]
	ds_write2_b64 v65, v[8:9], v[10:11] offset1:21
	ds_write2_b64 v65, v[6:7], v[22:23] offset0:84 offset1:105
	ds_write2_b64 v119, v[0:1], v[2:3] offset0:126 offset1:147
	ds_write_b64 v119, v[26:27] offset:1344
	s_waitcnt lgkmcnt(0)
	; wave barrier
	s_waitcnt lgkmcnt(0)
	ds_read2_b64 v[0:3], v65 offset0:42 offset1:63
	ds_read2_b64 v[4:7], v65 offset1:21
	ds_read2_b64 v[8:11], v65 offset0:126 offset1:147
	v_mad_u64_u32 v[18:19], s[2:3], s6, v64, 0
	s_waitcnt lgkmcnt(2)
	v_pk_mul_f32 v[12:13], v[36:37], v[2:3]
	s_nop 0
	v_pk_fma_f32 v[20:21], v[88:89], v[2:3], v[12:13] op_sel:[0,0,1] op_sel_hi:[1,1,0]
	v_pk_fma_f32 v[2:3], v[88:89], v[2:3], v[12:13] op_sel:[0,0,1] op_sel_hi:[1,1,0] neg_lo:[0,0,1] neg_hi:[0,0,1]
	ds_read2_b64 v[12:15], v65 offset0:84 offset1:105
	v_mov_b32_e32 v21, v3
	s_waitcnt lgkmcnt(1)
	v_pk_mul_f32 v[2:3], v[38:39], v[8:9]
	s_waitcnt lgkmcnt(0)
	v_pk_mul_f32 v[26:27], v[28:29], v[14:15]
	v_pk_fma_f32 v[22:23], v[86:87], v[8:9], v[2:3] op_sel:[0,0,1] op_sel_hi:[1,1,0]
	v_pk_fma_f32 v[2:3], v[86:87], v[8:9], v[2:3] op_sel:[0,0,1] op_sel_hi:[1,1,0] neg_lo:[0,0,1] neg_hi:[0,0,1]
	v_pk_mul_f32 v[8:9], v[32:33], v[12:13]
	v_mov_b32_e32 v23, v3
	v_pk_fma_f32 v[24:25], v[84:85], v[12:13], v[8:9] op_sel:[0,0,1] op_sel_hi:[1,1,0]
	v_pk_fma_f32 v[8:9], v[84:85], v[12:13], v[8:9] op_sel:[0,0,1] op_sel_hi:[1,1,0] neg_lo:[0,0,1] neg_hi:[0,0,1]
	v_pk_add_f32 v[2:3], v[4:5], v[20:21]
	v_mov_b32_e32 v25, v9
	v_pk_mul_f32 v[8:9], v[34:35], v[10:11]
	v_pk_add_f32 v[2:3], v[2:3], v[22:23]
	v_pk_fma_f32 v[12:13], v[82:83], v[10:11], v[8:9] op_sel:[0,0,1] op_sel_hi:[1,1,0]
	v_pk_fma_f32 v[8:9], v[82:83], v[10:11], v[8:9] op_sel:[0,0,1] op_sel_hi:[1,1,0] neg_lo:[0,0,1] neg_hi:[0,0,1]
	ds_read_b64 v[10:11], v65 offset:1344
	ds_write_b64 v65, v[2:3]
	v_pk_add_f32 v[2:3], v[20:21], v[22:23]
	v_pk_fma_f32 v[28:29], v[80:81], v[14:15], v[26:27] op_sel:[0,0,1] op_sel_hi:[1,1,0]
	v_pk_fma_f32 v[14:15], v[80:81], v[14:15], v[26:27] op_sel:[0,0,1] op_sel_hi:[1,1,0] neg_lo:[0,0,1] neg_hi:[0,0,1]
	v_pk_fma_f32 v[2:3], v[2:3], 0.5, v[4:5] op_sel_hi:[1,0,1] neg_lo:[1,0,0] neg_hi:[1,0,0]
	v_pk_add_f32 v[4:5], v[20:21], v[22:23] neg_lo:[0,1] neg_hi:[0,1]
	v_mov_b32_e32 v29, v15
	s_waitcnt lgkmcnt(1)
	v_pk_mul_f32 v[14:15], v[30:31], v[10:11]
	v_pk_mul_f32 v[4:5], v[4:5], s[0:1] op_sel_hi:[1,0]
	v_pk_fma_f32 v[26:27], v[78:79], v[10:11], v[14:15] op_sel:[0,0,1] op_sel_hi:[1,1,0]
	v_pk_fma_f32 v[10:11], v[78:79], v[10:11], v[14:15] op_sel:[0,0,1] op_sel_hi:[1,1,0] neg_lo:[0,0,1] neg_hi:[0,0,1]
	v_pk_add_f32 v[14:15], v[2:3], v[4:5] op_sel:[0,1] op_sel_hi:[1,0] neg_lo:[0,1] neg_hi:[0,1]
	v_pk_add_f32 v[2:3], v[2:3], v[4:5] op_sel:[0,1] op_sel_hi:[1,0]
	v_mov_b32_e32 v13, v9
	v_pk_add_f32 v[8:9], v[6:7], v[24:25]
	v_mov_b32_e32 v4, v14
	v_mov_b32_e32 v5, v3
	;; [unrolled: 1-line block ×3, first 2 shown]
	v_pk_add_f32 v[8:9], v[8:9], v[12:13]
	ds_write2_b64 v59, v[4:5], v[2:3] offset0:63 offset1:126
	ds_write_b64 v59, v[8:9] offset:168
	v_pk_add_f32 v[2:3], v[24:25], v[12:13]
	v_pk_add_f32 v[4:5], v[24:25], v[12:13] neg_lo:[0,1] neg_hi:[0,1]
	v_pk_fma_f32 v[2:3], v[2:3], 0.5, v[6:7] op_sel_hi:[1,0,1] neg_lo:[1,0,0] neg_hi:[1,0,0]
	v_pk_mul_f32 v[4:5], v[4:5], s[0:1] op_sel_hi:[1,0]
	v_mov_b32_e32 v27, v11
	v_pk_add_f32 v[6:7], v[2:3], v[4:5] op_sel:[0,1] op_sel_hi:[1,0] neg_lo:[0,1] neg_hi:[0,1]
	v_pk_add_f32 v[2:3], v[2:3], v[4:5] op_sel:[0,1] op_sel_hi:[1,0]
	v_pk_add_f32 v[10:11], v[0:1], v[28:29]
	v_mov_b32_e32 v4, v6
	v_mov_b32_e32 v5, v3
	v_mov_b32_e32 v3, v7
	v_pk_add_f32 v[10:11], v[10:11], v[26:27]
	ds_write2_b64 v121, v[4:5], v[2:3] offset0:63 offset1:126
	ds_write_b64 v59, v[10:11] offset:336
	v_pk_add_f32 v[2:3], v[28:29], v[26:27]
	v_mad_u64_u32 v[6:7], s[2:3], s4, v58, 0
	v_pk_fma_f32 v[0:1], v[2:3], 0.5, v[0:1] op_sel_hi:[1,0,1] neg_lo:[1,0,0] neg_hi:[1,0,0]
	v_pk_add_f32 v[2:3], v[28:29], v[26:27] neg_lo:[0,1] neg_hi:[0,1]
	s_nop 0
	v_pk_mul_f32 v[2:3], v[2:3], s[0:1] op_sel_hi:[1,0]
	s_nop 0
	v_pk_add_f32 v[4:5], v[0:1], v[2:3] op_sel:[0,1] op_sel_hi:[1,0] neg_lo:[0,1] neg_hi:[0,1]
	v_pk_add_f32 v[0:1], v[0:1], v[2:3] op_sel:[0,1] op_sel_hi:[1,0]
	v_mov_b32_e32 v2, v4
	v_mov_b32_e32 v3, v1
	;; [unrolled: 1-line block ×3, first 2 shown]
	ds_write2_b64 v120, v[2:3], v[0:1] offset0:63 offset1:126
	s_waitcnt lgkmcnt(0)
	; wave barrier
	s_waitcnt lgkmcnt(0)
	ds_read2_b64 v[0:3], v65 offset1:27
	v_mov_b32_e32 v4, v19
	v_mad_u64_u32 v[4:5], s[0:1], s7, v64, v[4:5]
	v_mov_b32_e32 v19, v4
	s_waitcnt lgkmcnt(0)
	v_mul_f32_e32 v4, v75, v1
	v_fmac_f32_e32 v4, v74, v0
	v_mul_f32_e32 v0, v75, v0
	s_mov_b32 s0, 0x6b015ac0
	v_fma_f32 v0, v74, v1, -v0
	v_cvt_f64_f32_e32 v[4:5], v4
	s_mov_b32 s1, 0x3f75ac05
	v_cvt_f64_f32_e32 v[0:1], v0
	v_mul_f64 v[4:5], v[4:5], s[0:1]
	v_mul_f64 v[0:1], v[0:1], s[0:1]
	v_cvt_f32_f64_e32 v4, v[4:5]
	v_cvt_f32_f64_e32 v5, v[0:1]
	v_mov_b32_e32 v0, v7
	v_mad_u64_u32 v[0:1], s[2:3], s5, v58, v[0:1]
	v_mov_b32_e32 v7, v0
	v_lshl_add_u64 v[0:1], v[18:19], 3, v[16:17]
	v_lshl_add_u64 v[6:7], v[6:7], 3, v[0:1]
	global_store_dwordx2 v[6:7], v[4:5], off
	v_mul_f32_e32 v4, v73, v3
	v_fmac_f32_e32 v4, v72, v2
	v_mul_f32_e32 v2, v73, v2
	v_fma_f32 v2, v72, v3, -v2
	v_cvt_f64_f32_e32 v[4:5], v4
	v_cvt_f64_f32_e32 v[2:3], v2
	v_mul_f64 v[4:5], v[4:5], s[0:1]
	v_mul_f64 v[2:3], v[2:3], s[0:1]
	v_cvt_f32_f64_e32 v8, v[4:5]
	v_cvt_f32_f64_e32 v9, v[2:3]
	ds_read2_b64 v[2:5], v65 offset0:54 offset1:81
	s_mul_i32 s2, s5, 27
	s_mul_hi_u32 s3, s4, 27
	s_add_i32 s3, s3, s2
	s_mul_i32 s2, s4, 27
	s_lshl_b64 s[2:3], s[2:3], 3
	v_lshl_add_u64 v[6:7], v[6:7], 0, s[2:3]
	global_store_dwordx2 v[6:7], v[8:9], off
	s_waitcnt lgkmcnt(0)
	v_mul_f32_e32 v8, v71, v3
	v_fmac_f32_e32 v8, v70, v2
	v_mul_f32_e32 v2, v71, v2
	v_fma_f32 v2, v70, v3, -v2
	v_cvt_f64_f32_e32 v[8:9], v8
	v_cvt_f64_f32_e32 v[2:3], v2
	v_mul_f64 v[8:9], v[8:9], s[0:1]
	v_mul_f64 v[2:3], v[2:3], s[0:1]
	v_cvt_f32_f64_e32 v8, v[8:9]
	v_cvt_f32_f64_e32 v9, v[2:3]
	v_mul_f32_e32 v2, v69, v5
	v_fmac_f32_e32 v2, v68, v4
	v_cvt_f64_f32_e32 v[2:3], v2
	v_lshl_add_u64 v[6:7], v[6:7], 0, s[2:3]
	v_mul_f64 v[2:3], v[2:3], s[0:1]
	global_store_dwordx2 v[6:7], v[8:9], off
	v_cvt_f32_f64_e32 v8, v[2:3]
	v_mul_f32_e32 v2, v69, v4
	v_fma_f32 v2, v68, v5, -v2
	v_cvt_f64_f32_e32 v[10:11], v2
	ds_read2_b64 v[2:5], v65 offset0:108 offset1:135
	v_mul_f64 v[10:11], v[10:11], s[0:1]
	v_cvt_f32_f64_e32 v9, v[10:11]
	v_lshl_add_u64 v[6:7], v[6:7], 0, s[2:3]
	global_store_dwordx2 v[6:7], v[8:9], off
	s_waitcnt lgkmcnt(0)
	v_mul_f32_e32 v8, v67, v3
	v_fmac_f32_e32 v8, v66, v2
	v_mul_f32_e32 v2, v67, v2
	v_fma_f32 v2, v66, v3, -v2
	v_cvt_f64_f32_e32 v[8:9], v8
	v_cvt_f64_f32_e32 v[2:3], v2
	v_mul_f64 v[8:9], v[8:9], s[0:1]
	v_mul_f64 v[2:3], v[2:3], s[0:1]
	v_cvt_f32_f64_e32 v8, v[8:9]
	v_cvt_f32_f64_e32 v9, v[2:3]
	v_lshl_add_u64 v[2:3], v[6:7], 0, s[2:3]
	global_store_dwordx2 v[2:3], v[8:9], off
	v_mul_f32_e32 v6, v63, v5
	ds_read_b64 v[8:9], v65 offset:1296
	v_fmac_f32_e32 v6, v62, v4
	v_mul_f32_e32 v4, v63, v4
	v_fma_f32 v4, v62, v5, -v4
	v_cvt_f64_f32_e32 v[6:7], v6
	v_cvt_f64_f32_e32 v[4:5], v4
	v_mul_f64 v[6:7], v[6:7], s[0:1]
	v_mul_f64 v[4:5], v[4:5], s[0:1]
	v_cvt_f32_f64_e32 v6, v[6:7]
	v_cvt_f32_f64_e32 v7, v[4:5]
	s_waitcnt lgkmcnt(0)
	v_mul_f32_e32 v4, v61, v9
	v_fmac_f32_e32 v4, v60, v8
	v_cvt_f64_f32_e32 v[4:5], v4
	v_mul_f64 v[4:5], v[4:5], s[0:1]
	v_cvt_f32_f64_e32 v4, v[4:5]
	v_mul_f32_e32 v5, v61, v8
	v_lshl_add_u64 v[2:3], v[2:3], 0, s[2:3]
	v_fma_f32 v5, v60, v9, -v5
	global_store_dwordx2 v[2:3], v[6:7], off
	v_cvt_f64_f32_e32 v[6:7], v5
	v_mul_f64 v[6:7], v[6:7], s[0:1]
	v_cvt_f32_f64_e32 v5, v[6:7]
	v_lshl_add_u64 v[2:3], v[2:3], 0, s[2:3]
	global_store_dwordx2 v[2:3], v[4:5], off
	s_and_b64 exec, exec, vcc
	s_cbranch_execz .LBB0_15
; %bb.14:
	global_load_dwordx2 v[16:17], v[56:57], off offset:168
	global_load_dwordx2 v[18:19], v[56:57], off offset:384
	;; [unrolled: 1-line block ×6, first 2 shown]
	ds_read_b64 v[28:29], v59 offset:168
	ds_read2_b64 v[4:7], v65 offset0:48 offset1:75
	ds_read2_b64 v[8:11], v65 offset0:102 offset1:129
	;; [unrolled: 1-line block ×3, first 2 shown]
	v_mov_b32_e32 v32, 0xfffffb98
	s_mul_i32 s8, s5, 0xfffffb98
	v_mad_u64_u32 v[30:31], s[6:7], s4, v112, 0
	v_mad_u64_u32 v[2:3], s[6:7], s4, v32, v[2:3]
	s_sub_i32 s6, s8, s4
	v_mov_b32_e32 v32, v31
	v_mov_b32_e32 v34, 0x1b0
	v_add_u32_e32 v3, s6, v3
	v_mad_u64_u32 v[32:33], s[6:7], s5, v112, v[32:33]
	s_mul_i32 s9, s5, 0x1b0
	v_mov_b32_e32 v31, v32
	v_mad_u64_u32 v[32:33], s[4:5], s4, v34, v[2:3]
	v_add_u32_e32 v33, s9, v33
	v_lshl_add_u64 v[0:1], v[30:31], 3, v[0:1]
	v_lshl_add_u64 v[30:31], v[32:33], 0, s[2:3]
	;; [unrolled: 1-line block ×3, first 2 shown]
	s_waitcnt vmcnt(5) lgkmcnt(3)
	v_mul_f32_e32 v36, v29, v17
	v_mul_f32_e32 v17, v28, v17
	s_waitcnt vmcnt(4) lgkmcnt(2)
	v_mul_f32_e32 v37, v5, v19
	v_mul_f32_e32 v19, v4, v19
	s_waitcnt vmcnt(3)
	v_mul_f32_e32 v38, v7, v21
	v_mul_f32_e32 v21, v6, v21
	s_waitcnt vmcnt(2) lgkmcnt(1)
	v_mul_f32_e32 v39, v9, v23
	v_mul_f32_e32 v23, v8, v23
	s_waitcnt vmcnt(1)
	v_mul_f32_e32 v40, v11, v25
	v_mul_f32_e32 v25, v10, v25
	v_fmac_f32_e32 v36, v28, v16
	v_fma_f32 v16, v16, v29, -v17
	v_fmac_f32_e32 v37, v4, v18
	v_fma_f32 v17, v18, v5, -v19
	;; [unrolled: 2-line block ×5, first 2 shown]
	v_cvt_f64_f32_e32 v[4:5], v36
	v_cvt_f64_f32_e32 v[6:7], v16
	s_waitcnt vmcnt(0) lgkmcnt(0)
	v_mul_f32_e32 v41, v13, v27
	v_cvt_f64_f32_e32 v[8:9], v37
	v_cvt_f64_f32_e32 v[10:11], v17
	;; [unrolled: 1-line block ×8, first 2 shown]
	v_mul_f64 v[4:5], v[4:5], s[0:1]
	v_mul_f64 v[6:7], v[6:7], s[0:1]
	;; [unrolled: 1-line block ×10, first 2 shown]
	v_cvt_f32_f64_e32 v4, v[4:5]
	v_cvt_f32_f64_e32 v5, v[6:7]
	v_fmac_f32_e32 v41, v12, v26
	v_cvt_f32_f64_e32 v6, v[8:9]
	v_cvt_f32_f64_e32 v7, v[10:11]
	v_cvt_f32_f64_e32 v8, v[16:17]
	v_cvt_f32_f64_e32 v9, v[18:19]
	v_cvt_f32_f64_e32 v10, v[20:21]
	v_cvt_f32_f64_e32 v11, v[22:23]
	v_cvt_f32_f64_e32 v16, v[24:25]
	v_cvt_f32_f64_e32 v17, v[28:29]
	global_store_dwordx2 v[2:3], v[4:5], off
	global_store_dwordx2 v[0:1], v[6:7], off
	;; [unrolled: 1-line block ×5, first 2 shown]
	v_cvt_f64_f32_e32 v[0:1], v41
	v_mul_f64 v[0:1], v[0:1], s[0:1]
	v_cvt_f32_f64_e32 v0, v[0:1]
	v_mul_f32_e32 v1, v12, v27
	v_fma_f32 v1, v26, v13, -v1
	v_cvt_f64_f32_e32 v[2:3], v1
	v_mul_f64 v[2:3], v[2:3], s[0:1]
	v_cvt_f32_f64_e32 v1, v[2:3]
	v_lshl_add_u64 v[2:3], v[34:35], 0, s[2:3]
	global_store_dwordx2 v[2:3], v[0:1], off
	global_load_dwordx2 v[0:1], v[56:57], off offset:1464
	v_lshl_add_u64 v[2:3], v[2:3], 0, s[2:3]
	s_waitcnt vmcnt(0)
	v_mul_f32_e32 v4, v15, v1
	v_mul_f32_e32 v1, v14, v1
	v_fmac_f32_e32 v4, v14, v0
	v_fma_f32 v5, v0, v15, -v1
	v_cvt_f64_f32_e32 v[0:1], v4
	v_cvt_f64_f32_e32 v[4:5], v5
	v_mul_f64 v[0:1], v[0:1], s[0:1]
	v_mul_f64 v[4:5], v[4:5], s[0:1]
	v_cvt_f32_f64_e32 v0, v[0:1]
	v_cvt_f32_f64_e32 v1, v[4:5]
	global_store_dwordx2 v[2:3], v[0:1], off
.LBB0_15:
	s_endpgm
	.section	.rodata,"a",@progbits
	.p2align	6, 0x0
	.amdhsa_kernel bluestein_single_back_len189_dim1_sp_op_CI_CI
		.amdhsa_group_segment_fixed_size 4536
		.amdhsa_private_segment_fixed_size 0
		.amdhsa_kernarg_size 104
		.amdhsa_user_sgpr_count 2
		.amdhsa_user_sgpr_dispatch_ptr 0
		.amdhsa_user_sgpr_queue_ptr 0
		.amdhsa_user_sgpr_kernarg_segment_ptr 1
		.amdhsa_user_sgpr_dispatch_id 0
		.amdhsa_user_sgpr_kernarg_preload_length 0
		.amdhsa_user_sgpr_kernarg_preload_offset 0
		.amdhsa_user_sgpr_private_segment_size 0
		.amdhsa_uses_dynamic_stack 0
		.amdhsa_enable_private_segment 0
		.amdhsa_system_sgpr_workgroup_id_x 1
		.amdhsa_system_sgpr_workgroup_id_y 0
		.amdhsa_system_sgpr_workgroup_id_z 0
		.amdhsa_system_sgpr_workgroup_info 0
		.amdhsa_system_vgpr_workitem_id 0
		.amdhsa_next_free_vgpr 136
		.amdhsa_next_free_sgpr 26
		.amdhsa_accum_offset 136
		.amdhsa_reserve_vcc 1
		.amdhsa_float_round_mode_32 0
		.amdhsa_float_round_mode_16_64 0
		.amdhsa_float_denorm_mode_32 3
		.amdhsa_float_denorm_mode_16_64 3
		.amdhsa_dx10_clamp 1
		.amdhsa_ieee_mode 1
		.amdhsa_fp16_overflow 0
		.amdhsa_tg_split 0
		.amdhsa_exception_fp_ieee_invalid_op 0
		.amdhsa_exception_fp_denorm_src 0
		.amdhsa_exception_fp_ieee_div_zero 0
		.amdhsa_exception_fp_ieee_overflow 0
		.amdhsa_exception_fp_ieee_underflow 0
		.amdhsa_exception_fp_ieee_inexact 0
		.amdhsa_exception_int_div_zero 0
	.end_amdhsa_kernel
	.text
.Lfunc_end0:
	.size	bluestein_single_back_len189_dim1_sp_op_CI_CI, .Lfunc_end0-bluestein_single_back_len189_dim1_sp_op_CI_CI
                                        ; -- End function
	.section	.AMDGPU.csdata,"",@progbits
; Kernel info:
; codeLenInByte = 9064
; NumSgprs: 32
; NumVgprs: 136
; NumAgprs: 0
; TotalNumVgprs: 136
; ScratchSize: 0
; MemoryBound: 0
; FloatMode: 240
; IeeeMode: 1
; LDSByteSize: 4536 bytes/workgroup (compile time only)
; SGPRBlocks: 3
; VGPRBlocks: 16
; NumSGPRsForWavesPerEU: 32
; NumVGPRsForWavesPerEU: 136
; AccumOffset: 136
; Occupancy: 3
; WaveLimiterHint : 1
; COMPUTE_PGM_RSRC2:SCRATCH_EN: 0
; COMPUTE_PGM_RSRC2:USER_SGPR: 2
; COMPUTE_PGM_RSRC2:TRAP_HANDLER: 0
; COMPUTE_PGM_RSRC2:TGID_X_EN: 1
; COMPUTE_PGM_RSRC2:TGID_Y_EN: 0
; COMPUTE_PGM_RSRC2:TGID_Z_EN: 0
; COMPUTE_PGM_RSRC2:TIDIG_COMP_CNT: 0
; COMPUTE_PGM_RSRC3_GFX90A:ACCUM_OFFSET: 33
; COMPUTE_PGM_RSRC3_GFX90A:TG_SPLIT: 0
	.text
	.p2alignl 6, 3212836864
	.fill 256, 4, 3212836864
	.type	__hip_cuid_b5ccc7aaa89697b8,@object ; @__hip_cuid_b5ccc7aaa89697b8
	.section	.bss,"aw",@nobits
	.globl	__hip_cuid_b5ccc7aaa89697b8
__hip_cuid_b5ccc7aaa89697b8:
	.byte	0                               ; 0x0
	.size	__hip_cuid_b5ccc7aaa89697b8, 1

	.ident	"AMD clang version 19.0.0git (https://github.com/RadeonOpenCompute/llvm-project roc-6.4.0 25133 c7fe45cf4b819c5991fe208aaa96edf142730f1d)"
	.section	".note.GNU-stack","",@progbits
	.addrsig
	.addrsig_sym __hip_cuid_b5ccc7aaa89697b8
	.amdgpu_metadata
---
amdhsa.kernels:
  - .agpr_count:     0
    .args:
      - .actual_access:  read_only
        .address_space:  global
        .offset:         0
        .size:           8
        .value_kind:     global_buffer
      - .actual_access:  read_only
        .address_space:  global
        .offset:         8
        .size:           8
        .value_kind:     global_buffer
      - .actual_access:  read_only
        .address_space:  global
        .offset:         16
        .size:           8
        .value_kind:     global_buffer
      - .actual_access:  read_only
        .address_space:  global
        .offset:         24
        .size:           8
        .value_kind:     global_buffer
      - .actual_access:  read_only
        .address_space:  global
        .offset:         32
        .size:           8
        .value_kind:     global_buffer
      - .offset:         40
        .size:           8
        .value_kind:     by_value
      - .address_space:  global
        .offset:         48
        .size:           8
        .value_kind:     global_buffer
      - .address_space:  global
        .offset:         56
        .size:           8
        .value_kind:     global_buffer
      - .address_space:  global
        .offset:         64
        .size:           8
        .value_kind:     global_buffer
      - .address_space:  global
        .offset:         72
        .size:           8
        .value_kind:     global_buffer
      - .offset:         80
        .size:           4
        .value_kind:     by_value
      - .address_space:  global
        .offset:         88
        .size:           8
        .value_kind:     global_buffer
      - .address_space:  global
        .offset:         96
        .size:           8
        .value_kind:     global_buffer
    .group_segment_fixed_size: 4536
    .kernarg_segment_align: 8
    .kernarg_segment_size: 104
    .language:       OpenCL C
    .language_version:
      - 2
      - 0
    .max_flat_workgroup_size: 63
    .name:           bluestein_single_back_len189_dim1_sp_op_CI_CI
    .private_segment_fixed_size: 0
    .sgpr_count:     32
    .sgpr_spill_count: 0
    .symbol:         bluestein_single_back_len189_dim1_sp_op_CI_CI.kd
    .uniform_work_group_size: 1
    .uses_dynamic_stack: false
    .vgpr_count:     136
    .vgpr_spill_count: 0
    .wavefront_size: 64
amdhsa.target:   amdgcn-amd-amdhsa--gfx950
amdhsa.version:
  - 1
  - 2
...

	.end_amdgpu_metadata
